;; amdgpu-corpus repo=ROCm/rocFFT kind=compiled arch=gfx1030 opt=O3
	.text
	.amdgcn_target "amdgcn-amd-amdhsa--gfx1030"
	.amdhsa_code_object_version 6
	.protected	fft_rtc_back_len1680_factors_2_2_2_2_3_7_5_wgs_112_tpt_112_halfLds_half_op_CI_CI_unitstride_sbrr_R2C_dirReg ; -- Begin function fft_rtc_back_len1680_factors_2_2_2_2_3_7_5_wgs_112_tpt_112_halfLds_half_op_CI_CI_unitstride_sbrr_R2C_dirReg
	.globl	fft_rtc_back_len1680_factors_2_2_2_2_3_7_5_wgs_112_tpt_112_halfLds_half_op_CI_CI_unitstride_sbrr_R2C_dirReg
	.p2align	8
	.type	fft_rtc_back_len1680_factors_2_2_2_2_3_7_5_wgs_112_tpt_112_halfLds_half_op_CI_CI_unitstride_sbrr_R2C_dirReg,@function
fft_rtc_back_len1680_factors_2_2_2_2_3_7_5_wgs_112_tpt_112_halfLds_half_op_CI_CI_unitstride_sbrr_R2C_dirReg: ; @fft_rtc_back_len1680_factors_2_2_2_2_3_7_5_wgs_112_tpt_112_halfLds_half_op_CI_CI_unitstride_sbrr_R2C_dirReg
; %bb.0:
	s_clause 0x2
	s_load_dwordx4 s[12:15], s[4:5], 0x0
	s_load_dwordx4 s[8:11], s[4:5], 0x58
	;; [unrolled: 1-line block ×3, first 2 shown]
	v_mul_u32_u24_e32 v1, 0x24a, v0
	v_mov_b32_e32 v3, 0
	v_mov_b32_e32 v15, 0
	;; [unrolled: 1-line block ×3, first 2 shown]
	v_add_nc_u32_sdwa v7, s6, v1 dst_sel:DWORD dst_unused:UNUSED_PAD src0_sel:DWORD src1_sel:WORD_1
	v_mov_b32_e32 v8, v3
	s_waitcnt lgkmcnt(0)
	v_cmp_lt_u64_e64 s0, s[14:15], 2
	s_and_b32 vcc_lo, exec_lo, s0
	s_cbranch_vccnz .LBB0_8
; %bb.1:
	s_load_dwordx2 s[0:1], s[4:5], 0x10
	v_mov_b32_e32 v15, 0
	v_mov_b32_e32 v16, 0
	s_add_u32 s2, s18, 8
	s_addc_u32 s3, s19, 0
	v_mov_b32_e32 v1, v15
	s_add_u32 s6, s16, 8
	v_mov_b32_e32 v2, v16
	s_addc_u32 s7, s17, 0
	s_mov_b64 s[22:23], 1
	s_waitcnt lgkmcnt(0)
	s_add_u32 s20, s0, 8
	s_addc_u32 s21, s1, 0
.LBB0_2:                                ; =>This Inner Loop Header: Depth=1
	s_load_dwordx2 s[24:25], s[20:21], 0x0
                                        ; implicit-def: $vgpr5_vgpr6
	s_mov_b32 s0, exec_lo
	s_waitcnt lgkmcnt(0)
	v_or_b32_e32 v4, s25, v8
	v_cmpx_ne_u64_e32 0, v[3:4]
	s_xor_b32 s1, exec_lo, s0
	s_cbranch_execz .LBB0_4
; %bb.3:                                ;   in Loop: Header=BB0_2 Depth=1
	v_cvt_f32_u32_e32 v4, s24
	v_cvt_f32_u32_e32 v5, s25
	s_sub_u32 s0, 0, s24
	s_subb_u32 s26, 0, s25
	v_fmac_f32_e32 v4, 0x4f800000, v5
	v_rcp_f32_e32 v4, v4
	v_mul_f32_e32 v4, 0x5f7ffffc, v4
	v_mul_f32_e32 v5, 0x2f800000, v4
	v_trunc_f32_e32 v5, v5
	v_fmac_f32_e32 v4, 0xcf800000, v5
	v_cvt_u32_f32_e32 v5, v5
	v_cvt_u32_f32_e32 v4, v4
	v_mul_lo_u32 v6, s0, v5
	v_mul_hi_u32 v9, s0, v4
	v_mul_lo_u32 v10, s26, v4
	v_add_nc_u32_e32 v6, v9, v6
	v_mul_lo_u32 v9, s0, v4
	v_add_nc_u32_e32 v6, v6, v10
	v_mul_hi_u32 v10, v4, v9
	v_mul_lo_u32 v11, v4, v6
	v_mul_hi_u32 v12, v4, v6
	v_mul_hi_u32 v13, v5, v9
	v_mul_lo_u32 v9, v5, v9
	v_mul_hi_u32 v14, v5, v6
	v_mul_lo_u32 v6, v5, v6
	v_add_co_u32 v10, vcc_lo, v10, v11
	v_add_co_ci_u32_e32 v11, vcc_lo, 0, v12, vcc_lo
	v_add_co_u32 v9, vcc_lo, v10, v9
	v_add_co_ci_u32_e32 v9, vcc_lo, v11, v13, vcc_lo
	v_add_co_ci_u32_e32 v10, vcc_lo, 0, v14, vcc_lo
	v_add_co_u32 v6, vcc_lo, v9, v6
	v_add_co_ci_u32_e32 v9, vcc_lo, 0, v10, vcc_lo
	v_add_co_u32 v4, vcc_lo, v4, v6
	v_add_co_ci_u32_e32 v5, vcc_lo, v5, v9, vcc_lo
	v_mul_hi_u32 v6, s0, v4
	v_mul_lo_u32 v10, s26, v4
	v_mul_lo_u32 v9, s0, v5
	v_add_nc_u32_e32 v6, v6, v9
	v_mul_lo_u32 v9, s0, v4
	v_add_nc_u32_e32 v6, v6, v10
	v_mul_hi_u32 v10, v4, v9
	v_mul_lo_u32 v11, v4, v6
	v_mul_hi_u32 v12, v4, v6
	v_mul_hi_u32 v13, v5, v9
	v_mul_lo_u32 v9, v5, v9
	v_mul_hi_u32 v14, v5, v6
	v_mul_lo_u32 v6, v5, v6
	v_add_co_u32 v10, vcc_lo, v10, v11
	v_add_co_ci_u32_e32 v11, vcc_lo, 0, v12, vcc_lo
	v_add_co_u32 v9, vcc_lo, v10, v9
	v_add_co_ci_u32_e32 v9, vcc_lo, v11, v13, vcc_lo
	v_add_co_ci_u32_e32 v10, vcc_lo, 0, v14, vcc_lo
	v_add_co_u32 v6, vcc_lo, v9, v6
	v_add_co_ci_u32_e32 v9, vcc_lo, 0, v10, vcc_lo
	v_add_co_u32 v6, vcc_lo, v4, v6
	v_add_co_ci_u32_e32 v11, vcc_lo, v5, v9, vcc_lo
	v_mul_hi_u32 v13, v7, v6
	v_mad_u64_u32 v[9:10], null, v8, v6, 0
	v_mad_u64_u32 v[4:5], null, v7, v11, 0
	;; [unrolled: 1-line block ×3, first 2 shown]
	v_add_co_u32 v4, vcc_lo, v13, v4
	v_add_co_ci_u32_e32 v5, vcc_lo, 0, v5, vcc_lo
	v_add_co_u32 v4, vcc_lo, v4, v9
	v_add_co_ci_u32_e32 v4, vcc_lo, v5, v10, vcc_lo
	v_add_co_ci_u32_e32 v5, vcc_lo, 0, v12, vcc_lo
	v_add_co_u32 v9, vcc_lo, v4, v11
	v_add_co_ci_u32_e32 v6, vcc_lo, 0, v5, vcc_lo
	v_mul_lo_u32 v10, s25, v9
	v_mad_u64_u32 v[4:5], null, s24, v9, 0
	v_mul_lo_u32 v11, s24, v6
	v_sub_co_u32 v4, vcc_lo, v7, v4
	v_add3_u32 v5, v5, v11, v10
	v_sub_nc_u32_e32 v10, v8, v5
	v_subrev_co_ci_u32_e64 v10, s0, s25, v10, vcc_lo
	v_add_co_u32 v11, s0, v9, 2
	v_add_co_ci_u32_e64 v12, s0, 0, v6, s0
	v_sub_co_u32 v13, s0, v4, s24
	v_sub_co_ci_u32_e32 v5, vcc_lo, v8, v5, vcc_lo
	v_subrev_co_ci_u32_e64 v10, s0, 0, v10, s0
	v_cmp_le_u32_e32 vcc_lo, s24, v13
	v_cmp_eq_u32_e64 s0, s25, v5
	v_cndmask_b32_e64 v13, 0, -1, vcc_lo
	v_cmp_le_u32_e32 vcc_lo, s25, v10
	v_cndmask_b32_e64 v14, 0, -1, vcc_lo
	v_cmp_le_u32_e32 vcc_lo, s24, v4
	;; [unrolled: 2-line block ×3, first 2 shown]
	v_cndmask_b32_e64 v17, 0, -1, vcc_lo
	v_cmp_eq_u32_e32 vcc_lo, s25, v10
	v_cndmask_b32_e64 v4, v17, v4, s0
	v_cndmask_b32_e32 v10, v14, v13, vcc_lo
	v_add_co_u32 v13, vcc_lo, v9, 1
	v_add_co_ci_u32_e32 v14, vcc_lo, 0, v6, vcc_lo
	v_cmp_ne_u32_e32 vcc_lo, 0, v10
	v_cndmask_b32_e32 v5, v14, v12, vcc_lo
	v_cndmask_b32_e32 v10, v13, v11, vcc_lo
	v_cmp_ne_u32_e32 vcc_lo, 0, v4
	v_cndmask_b32_e32 v6, v6, v5, vcc_lo
	v_cndmask_b32_e32 v5, v9, v10, vcc_lo
.LBB0_4:                                ;   in Loop: Header=BB0_2 Depth=1
	s_andn2_saveexec_b32 s0, s1
	s_cbranch_execz .LBB0_6
; %bb.5:                                ;   in Loop: Header=BB0_2 Depth=1
	v_cvt_f32_u32_e32 v4, s24
	s_sub_i32 s1, 0, s24
	v_rcp_iflag_f32_e32 v4, v4
	v_mul_f32_e32 v4, 0x4f7ffffe, v4
	v_cvt_u32_f32_e32 v4, v4
	v_mul_lo_u32 v5, s1, v4
	v_mul_hi_u32 v5, v4, v5
	v_add_nc_u32_e32 v4, v4, v5
	v_mul_hi_u32 v4, v7, v4
	v_mul_lo_u32 v5, v4, s24
	v_add_nc_u32_e32 v6, 1, v4
	v_sub_nc_u32_e32 v5, v7, v5
	v_subrev_nc_u32_e32 v9, s24, v5
	v_cmp_le_u32_e32 vcc_lo, s24, v5
	v_cndmask_b32_e32 v5, v5, v9, vcc_lo
	v_cndmask_b32_e32 v4, v4, v6, vcc_lo
	v_cmp_le_u32_e32 vcc_lo, s24, v5
	v_add_nc_u32_e32 v6, 1, v4
	v_cndmask_b32_e32 v5, v4, v6, vcc_lo
	v_mov_b32_e32 v6, v3
.LBB0_6:                                ;   in Loop: Header=BB0_2 Depth=1
	s_or_b32 exec_lo, exec_lo, s0
	v_mul_lo_u32 v4, v6, s24
	v_mul_lo_u32 v11, v5, s25
	s_load_dwordx2 s[0:1], s[6:7], 0x0
	v_mad_u64_u32 v[9:10], null, v5, s24, 0
	s_load_dwordx2 s[24:25], s[2:3], 0x0
	s_add_u32 s22, s22, 1
	s_addc_u32 s23, s23, 0
	s_add_u32 s2, s2, 8
	s_addc_u32 s3, s3, 0
	s_add_u32 s6, s6, 8
	v_add3_u32 v4, v10, v11, v4
	v_sub_co_u32 v7, vcc_lo, v7, v9
	s_addc_u32 s7, s7, 0
	s_add_u32 s20, s20, 8
	v_sub_co_ci_u32_e32 v4, vcc_lo, v8, v4, vcc_lo
	s_addc_u32 s21, s21, 0
	s_waitcnt lgkmcnt(0)
	v_mul_lo_u32 v8, s0, v4
	v_mul_lo_u32 v9, s1, v7
	v_mad_u64_u32 v[15:16], null, s0, v7, v[15:16]
	v_mul_lo_u32 v4, s24, v4
	v_mul_lo_u32 v10, s25, v7
	v_mad_u64_u32 v[1:2], null, s24, v7, v[1:2]
	v_cmp_ge_u64_e64 s0, s[22:23], s[14:15]
	v_add3_u32 v16, v9, v16, v8
	v_add3_u32 v2, v10, v2, v4
	s_and_b32 vcc_lo, exec_lo, s0
	s_cbranch_vccnz .LBB0_9
; %bb.7:                                ;   in Loop: Header=BB0_2 Depth=1
	v_mov_b32_e32 v8, v6
	v_mov_b32_e32 v7, v5
	s_branch .LBB0_2
.LBB0_8:
	v_mov_b32_e32 v1, v15
	v_mov_b32_e32 v5, v7
	;; [unrolled: 1-line block ×4, first 2 shown]
.LBB0_9:
	s_load_dwordx2 s[0:1], s[4:5], 0x28
	v_mul_hi_u32 v4, 0x2492493, v0
	s_lshl_b64 s[4:5], s[14:15], 3
                                        ; implicit-def: $vgpr3
                                        ; implicit-def: $vgpr7
                                        ; implicit-def: $vgpr14
                                        ; implicit-def: $vgpr13
                                        ; implicit-def: $vgpr12
                                        ; implicit-def: $vgpr11
                                        ; implicit-def: $vgpr10
                                        ; implicit-def: $vgpr9
	s_add_u32 s2, s18, s4
	s_addc_u32 s3, s19, s5
	s_waitcnt lgkmcnt(0)
	v_cmp_gt_u64_e32 vcc_lo, s[0:1], v[5:6]
	v_cmp_le_u64_e64 s0, s[0:1], v[5:6]
	s_and_saveexec_b32 s1, s0
	s_xor_b32 s0, exec_lo, s1
; %bb.10:
	v_mul_u32_u24_e32 v3, 0x70, v4
                                        ; implicit-def: $vgpr4
                                        ; implicit-def: $vgpr15_vgpr16
	v_sub_nc_u32_e32 v3, v0, v3
                                        ; implicit-def: $vgpr0
	v_add_nc_u32_e32 v7, 0x70, v3
	v_add_nc_u32_e32 v14, 0xe0, v3
	;; [unrolled: 1-line block ×7, first 2 shown]
; %bb.11:
	s_andn2_saveexec_b32 s1, s0
	s_cbranch_execz .LBB0_13
; %bb.12:
	s_add_u32 s4, s16, s4
	s_addc_u32 s5, s17, s5
	s_load_dwordx2 s[4:5], s[4:5], 0x0
	s_waitcnt lgkmcnt(0)
	v_mul_lo_u32 v3, s5, v5
	v_mul_lo_u32 v9, s4, v6
	v_mad_u64_u32 v[7:8], null, s4, v5, 0
	v_add3_u32 v8, v8, v9, v3
	v_mul_u32_u24_e32 v3, 0x70, v4
	v_lshlrev_b64 v[9:10], 2, v[15:16]
	v_lshlrev_b64 v[7:8], 2, v[7:8]
	v_sub_nc_u32_e32 v3, v0, v3
	v_lshlrev_b32_e32 v17, 2, v3
	v_add_co_u32 v0, s0, s8, v7
	v_add_co_ci_u32_e64 v4, s0, s9, v8, s0
	v_add_co_u32 v0, s0, v0, v9
	v_add_co_ci_u32_e64 v4, s0, v4, v10, s0
	v_or_b32_e32 v9, 0xe00, v17
	v_add_co_u32 v7, s0, v0, v17
	v_add_co_ci_u32_e64 v8, s0, 0, v4, s0
	v_add_co_u32 v9, s0, v0, v9
	v_add_co_ci_u32_e64 v10, s0, 0, v4, s0
	;; [unrolled: 2-line block ×5, first 2 shown]
	s_clause 0xe
	global_load_dword v0, v[7:8], off
	global_load_dword v4, v[7:8], off offset:448
	global_load_dword v18, v[7:8], off offset:896
	;; [unrolled: 1-line block ×12, first 2 shown]
	global_load_dword v16, v[9:10], off
	global_load_dword v27, v[11:12], off offset:1984
	v_add_nc_u32_e32 v17, 0, v17
	v_add_nc_u32_e32 v7, 0x70, v3
	;; [unrolled: 1-line block ×14, first 2 shown]
	s_waitcnt vmcnt(13)
	ds_write2_b32 v17, v0, v4 offset1:112
	s_waitcnt vmcnt(11)
	ds_write2_b32 v28, v18, v19 offset0:96 offset1:208
	s_waitcnt vmcnt(9)
	ds_write2_b32 v29, v8, v20 offset0:64 offset1:176
	;; [unrolled: 2-line block ×4, first 2 shown]
	ds_write2_b32 v32, v23, v24 offset0:96 offset1:208
	ds_write2_b32 v33, v25, v26 offset0:64 offset1:176
	ds_write_b32 v17, v15 offset:6272
.LBB0_13:
	s_or_b32 exec_lo, exec_lo, s1
	v_lshlrev_b32_e32 v15, 2, v3
	s_load_dwordx2 s[2:3], s[2:3], 0x0
	s_waitcnt lgkmcnt(0)
	s_barrier
	buffer_gl0_inv
	v_add_nc_u32_e32 v37, 0, v15
	v_lshl_add_u32 v35, v7, 3, 0
	v_lshl_add_u32 v34, v14, 3, 0
	;; [unrolled: 1-line block ×4, first 2 shown]
	v_add_nc_u32_e32 v16, 0xa00, v37
	v_add_nc_u32_e32 v18, 0x1600, v37
	;; [unrolled: 1-line block ×7, first 2 shown]
	ds_read2_b32 v[16:17], v16 offset0:32 offset1:144
	ds_read2_b32 v[18:19], v18 offset0:104 offset1:216
	;; [unrolled: 1-line block ×6, first 2 shown]
	ds_read2_b32 v[28:29], v37 offset1:112
	ds_read2_b32 v[39:40], v8 offset0:72 offset1:184
	v_lshl_add_u32 v31, v11, 3, 0
	v_lshl_add_u32 v30, v10, 3, 0
	v_add_nc_u32_e32 v41, v37, v15
	v_cmp_gt_u32_e64 s0, 56, v3
	s_waitcnt lgkmcnt(0)
	s_barrier
	buffer_gl0_inv
	v_pk_add_f16 v38, v17, v19 neg_lo:[0,1] neg_hi:[0,1]
	v_pk_add_f16 v18, v16, v18 neg_lo:[0,1] neg_hi:[0,1]
	;; [unrolled: 1-line block ×8, first 2 shown]
	v_pk_fma_f16 v36, v17, 2.0, v38 op_sel_hi:[1,0,1] neg_lo:[0,0,1] neg_hi:[0,0,1]
	v_pk_fma_f16 v17, v21, 2.0, v19 op_sel_hi:[1,0,1] neg_lo:[0,0,1] neg_hi:[0,0,1]
	;; [unrolled: 1-line block ×8, first 2 shown]
	ds_write2_b32 v41, v25, v39 offset1:1
	ds_write2_b32 v35, v28, v27 offset1:1
	;; [unrolled: 1-line block ×7, first 2 shown]
	s_and_saveexec_b32 s1, s0
	s_cbranch_execz .LBB0_15
; %bb.14:
	v_lshl_add_u32 v16, v9, 3, 0
	ds_write2_b32 v16, v36, v38 offset1:1
.LBB0_15:
	s_or_b32 exec_lo, exec_lo, s1
	v_lshlrev_b32_e32 v17, 2, v14
	v_lshlrev_b32_e32 v28, 2, v13
	;; [unrolled: 1-line block ×6, first 2 shown]
	v_sub_nc_u32_e32 v16, v34, v17
	s_waitcnt lgkmcnt(0)
	s_barrier
	buffer_gl0_inv
	ds_read_b32 v39, v37
	ds_read2_b32 v[19:20], v8 offset0:72 offset1:184
	ds_read2_b32 v[21:22], v4 offset0:40 offset1:152
	v_sub_nc_u32_e32 v4, v32, v28
	v_sub_nc_u32_e32 v25, v33, v29
	ds_read2_b32 v[23:24], v0 offset0:8 offset1:120
	v_sub_nc_u32_e32 v0, v31, v46
	v_sub_nc_u32_e32 v26, v30, v49
	;; [unrolled: 1-line block ×3, first 2 shown]
	ds_read_b32 v40, v16
	ds_read_b32 v41, v4
	;; [unrolled: 1-line block ×6, first 2 shown]
	ds_read_b32 v44, v37 offset:6048
	v_lshlrev_b32_e32 v4, 1, v7
	v_lshlrev_b32_e32 v8, 1, v14
	;; [unrolled: 1-line block ×6, first 2 shown]
	v_lshrrev_b32_e32 v45, 16, v38
	v_lshl_add_u32 v0, v9, 2, 0
	s_and_saveexec_b32 s1, s0
	s_cbranch_execz .LBB0_17
; %bb.16:
	ds_read_b32 v38, v37 offset:6496
	ds_read_b32 v36, v0
	s_waitcnt lgkmcnt(1)
	v_lshrrev_b32_e32 v45, 16, v38
.LBB0_17:
	s_or_b32 exec_lo, exec_lo, s1
	v_and_b32_e32 v55, 1, v3
	v_sub_nc_u32_e32 v51, 0, v29
	v_lshlrev_b32_e32 v29, 1, v3
	v_sub_nc_u32_e32 v52, 0, v46
	s_waitcnt lgkmcnt(0)
	v_lshrrev_b32_e32 v57, 16, v36
	v_lshlrev_b32_e32 v50, 2, v55
	v_and_or_b32 v58, 0x1fc, v4, v55
	v_and_or_b32 v46, 0xfc, v29, v55
	;; [unrolled: 1-line block ×4, first 2 shown]
	global_load_dword v56, v50, s[12:13]
	v_and_or_b32 v61, 0x7fc, v25, v55
	v_lshl_add_u32 v64, v46, 2, 0
	v_sub_nc_u32_e32 v54, 0, v18
	v_sub_nc_u32_e32 v53, 0, v17
	;; [unrolled: 1-line block ×4, first 2 shown]
	v_lshlrev_b32_e32 v28, 1, v9
	v_and_or_b32 v62, 0x5fc, v26, v55
	v_and_or_b32 v63, 0x7fc, v27, v55
	v_lshl_add_u32 v58, v58, 2, 0
	v_lshl_add_u32 v59, v59, 2, 0
	;; [unrolled: 1-line block ×6, first 2 shown]
	s_waitcnt vmcnt(0)
	s_barrier
	buffer_gl0_inv
	v_mul_f16_sdwa v65, v45, v56 dst_sel:DWORD dst_unused:UNUSED_PAD src0_sel:DWORD src1_sel:WORD_1
	v_mul_f16_sdwa v66, v38, v56 dst_sel:DWORD dst_unused:UNUSED_PAD src0_sel:DWORD src1_sel:WORD_1
	v_pk_mul_f16 v67, v56, v19 op_sel:[0,1]
	v_pk_mul_f16 v68, v56, v20 op_sel:[0,1]
	;; [unrolled: 1-line block ×7, first 2 shown]
	v_fmac_f16_e32 v65, v38, v56
	v_fma_f16 v38, v45, v56, -v66
	v_pk_fma_f16 v66, v56, v19, v67 op_sel:[0,0,1] op_sel_hi:[1,1,0]
	v_pk_fma_f16 v19, v56, v19, v67 op_sel:[0,0,1] op_sel_hi:[1,0,0] neg_lo:[1,0,0] neg_hi:[1,0,0]
	v_pk_fma_f16 v67, v56, v20, v68 op_sel:[0,0,1] op_sel_hi:[1,1,0]
	v_pk_fma_f16 v20, v56, v20, v68 op_sel:[0,0,1] op_sel_hi:[1,0,0] neg_lo:[1,0,0] neg_hi:[1,0,0]
	;; [unrolled: 2-line block ×7, first 2 shown]
	v_bfi_b32 v19, 0xffff, v66, v19
	v_bfi_b32 v20, 0xffff, v67, v20
	v_bfi_b32 v21, 0xffff, v68, v21
	v_bfi_b32 v22, 0xffff, v69, v22
	v_bfi_b32 v23, 0xffff, v70, v23
	v_bfi_b32 v44, 0xffff, v73, v44
	v_sub_f16_e32 v45, v36, v65
	v_sub_f16_e32 v46, v57, v38
	v_bfi_b32 v24, 0xffff, v71, v24
	v_pk_add_f16 v19, v39, v19 neg_lo:[0,1] neg_hi:[0,1]
	v_pk_add_f16 v20, v47, v20 neg_lo:[0,1] neg_hi:[0,1]
	;; [unrolled: 1-line block ×6, first 2 shown]
	v_fma_f16 v36, v36, 2.0, -v45
	v_fma_f16 v44, v57, 2.0, -v46
	v_pk_add_f16 v24, v43, v24 neg_lo:[0,1] neg_hi:[0,1]
	v_pk_fma_f16 v39, v39, 2.0, v19 op_sel_hi:[1,0,1] neg_lo:[0,0,1] neg_hi:[0,0,1]
	v_pk_fma_f16 v47, v47, 2.0, v20 op_sel_hi:[1,0,1] neg_lo:[0,0,1] neg_hi:[0,0,1]
	;; [unrolled: 1-line block ×7, first 2 shown]
	ds_write2_b32 v64, v39, v19 offset1:2
	ds_write2_b32 v58, v47, v20 offset1:2
	;; [unrolled: 1-line block ×7, first 2 shown]
	s_and_saveexec_b32 s1, s0
	s_cbranch_execz .LBB0_19
; %bb.18:
	v_and_or_b32 v19, 0x6fc, v28, v55
	v_perm_b32 v20, v44, v36, 0x5040100
	v_perm_b32 v21, v46, v45, 0x5040100
	v_lshl_add_u32 v19, v19, 2, 0
	ds_write2_b32 v19, v20, v21 offset1:2
.LBB0_19:
	s_or_b32 exec_lo, exec_lo, s1
	v_add_nc_u32_e32 v19, 0xc00, v37
	v_add_nc_u32_e32 v21, 0x1000, v37
	;; [unrolled: 1-line block ×8, first 2 shown]
	s_waitcnt lgkmcnt(0)
	s_barrier
	buffer_gl0_inv
	ds_read_b32 v47, v37
	ds_read2_b32 v[19:20], v19 offset0:72 offset1:184
	v_add_nc_u32_e32 v43, v35, v54
	ds_read2_b32 v[23:24], v21 offset0:40 offset1:152
	ds_read2_b32 v[21:22], v22 offset0:8 offset1:120
	ds_read_b32 v34, v42
	ds_read_b32 v35, v41
	;; [unrolled: 1-line block ×6, first 2 shown]
	ds_read_b32 v30, v37 offset:6048
	s_and_saveexec_b32 s1, s0
	s_cbranch_execz .LBB0_21
; %bb.20:
	ds_read_b32 v36, v0
	ds_read_b32 v45, v37 offset:6496
	s_waitcnt lgkmcnt(1)
	v_lshrrev_b32_e32 v44, 16, v36
	s_waitcnt lgkmcnt(0)
	v_lshrrev_b32_e32 v46, 16, v45
.LBB0_21:
	s_or_b32 exec_lo, exec_lo, s1
	v_and_b32_e32 v52, 3, v3
	v_lshlrev_b32_e32 v31, 2, v52
	v_and_or_b32 v33, 0x1f8, v4, v52
	v_and_or_b32 v32, 0xf8, v29, v52
	;; [unrolled: 1-line block ×4, first 2 shown]
	global_load_dword v31, v31, s[12:13] offset:8
	v_lshl_add_u32 v59, v33, 2, 0
	v_lshl_add_u32 v58, v32, 2, 0
	v_and_or_b32 v55, 0x7f8, v25, v52
	v_and_or_b32 v56, 0x5f8, v26, v52
	;; [unrolled: 1-line block ×3, first 2 shown]
	v_lshl_add_u32 v53, v53, 2, 0
	v_lshl_add_u32 v54, v54, 2, 0
	;; [unrolled: 1-line block ×5, first 2 shown]
	s_waitcnt vmcnt(0) lgkmcnt(0)
	s_barrier
	buffer_gl0_inv
	v_mul_f16_sdwa v33, v46, v31 dst_sel:DWORD dst_unused:UNUSED_PAD src0_sel:DWORD src1_sel:WORD_1
	v_mul_f16_sdwa v60, v45, v31 dst_sel:DWORD dst_unused:UNUSED_PAD src0_sel:DWORD src1_sel:WORD_1
	v_pk_mul_f16 v61, v31, v19 op_sel:[0,1]
	v_pk_mul_f16 v62, v31, v20 op_sel:[0,1]
	;; [unrolled: 1-line block ×7, first 2 shown]
	v_fmac_f16_e32 v33, v45, v31
	v_fma_f16 v45, v46, v31, -v60
	v_pk_fma_f16 v46, v31, v19, v61 op_sel:[0,0,1] op_sel_hi:[1,1,0]
	v_pk_fma_f16 v19, v31, v19, v61 op_sel:[0,0,1] op_sel_hi:[1,0,0] neg_lo:[1,0,0] neg_hi:[1,0,0]
	v_pk_fma_f16 v60, v31, v20, v62 op_sel:[0,0,1] op_sel_hi:[1,1,0]
	v_pk_fma_f16 v20, v31, v20, v62 op_sel:[0,0,1] op_sel_hi:[1,0,0] neg_lo:[1,0,0] neg_hi:[1,0,0]
	;; [unrolled: 2-line block ×7, first 2 shown]
	v_bfi_b32 v19, 0xffff, v46, v19
	v_bfi_b32 v20, 0xffff, v60, v20
	;; [unrolled: 1-line block ×6, first 2 shown]
	v_sub_f16_e32 v32, v36, v33
	v_sub_f16_e32 v33, v44, v45
	v_bfi_b32 v22, 0xffff, v64, v22
	v_pk_add_f16 v19, v47, v19 neg_lo:[0,1] neg_hi:[0,1]
	v_pk_add_f16 v20, v50, v20 neg_lo:[0,1] neg_hi:[0,1]
	;; [unrolled: 1-line block ×6, first 2 shown]
	v_fma_f16 v30, v36, 2.0, -v32
	v_fma_f16 v31, v44, 2.0, -v33
	v_pk_add_f16 v22, v49, v22 neg_lo:[0,1] neg_hi:[0,1]
	v_pk_fma_f16 v44, v47, 2.0, v19 op_sel_hi:[1,0,1] neg_lo:[0,0,1] neg_hi:[0,0,1]
	v_pk_fma_f16 v46, v50, 2.0, v20 op_sel_hi:[1,0,1] neg_lo:[0,0,1] neg_hi:[0,0,1]
	;; [unrolled: 1-line block ×7, first 2 shown]
	ds_write2_b32 v58, v44, v19 offset1:4
	ds_write2_b32 v59, v46, v20 offset1:4
	;; [unrolled: 1-line block ×7, first 2 shown]
	s_and_saveexec_b32 s1, s0
	s_cbranch_execz .LBB0_23
; %bb.22:
	v_and_or_b32 v19, 0x6f8, v28, v52
	v_perm_b32 v20, v31, v30, 0x5040100
	v_perm_b32 v21, v33, v32, 0x5040100
	v_lshl_add_u32 v19, v19, 2, 0
	ds_write2_b32 v19, v20, v21 offset1:4
.LBB0_23:
	s_or_b32 exec_lo, exec_lo, s1
	v_add_nc_u32_e32 v19, 0xc00, v37
	v_add_nc_u32_e32 v20, 0x1000, v37
	;; [unrolled: 1-line block ×3, first 2 shown]
	s_waitcnt lgkmcnt(0)
	s_barrier
	buffer_gl0_inv
	ds_read_b32 v34, v37
	ds_read2_b32 v[23:24], v19 offset0:72 offset1:184
	ds_read2_b32 v[21:22], v20 offset0:40 offset1:152
	;; [unrolled: 1-line block ×3, first 2 shown]
	ds_read_b32 v35, v42
	ds_read_b32 v36, v41
	;; [unrolled: 1-line block ×6, first 2 shown]
	ds_read_b32 v49, v37 offset:6048
	s_and_saveexec_b32 s1, s0
	s_cbranch_execz .LBB0_25
; %bb.24:
	ds_read_b32 v30, v0
	ds_read_b32 v32, v37 offset:6496
	s_waitcnt lgkmcnt(1)
	v_lshrrev_b32_e32 v31, 16, v30
	s_waitcnt lgkmcnt(0)
	v_lshrrev_b32_e32 v33, 16, v32
.LBB0_25:
	s_or_b32 exec_lo, exec_lo, s1
	v_and_b32_e32 v48, 7, v3
	v_lshlrev_b32_e32 v50, 2, v48
	v_and_or_b32 v4, 0x1f0, v4, v48
	v_and_or_b32 v29, 0xf0, v29, v48
	;; [unrolled: 1-line block ×4, first 2 shown]
	global_load_dword v50, v50, s[12:13] offset:24
	v_lshl_add_u32 v51, v4, 2, 0
	v_and_or_b32 v25, 0x7f0, v25, v48
	v_and_or_b32 v26, 0x5f0, v26, v48
	v_and_or_b32 v27, 0x7f0, v27, v48
	v_lshl_add_u32 v29, v29, 2, 0
	v_lshl_add_u32 v8, v8, 2, 0
	;; [unrolled: 1-line block ×6, first 2 shown]
	s_waitcnt vmcnt(0) lgkmcnt(0)
	s_barrier
	buffer_gl0_inv
	v_mul_f16_sdwa v52, v33, v50 dst_sel:DWORD dst_unused:UNUSED_PAD src0_sel:DWORD src1_sel:WORD_1
	v_mul_f16_sdwa v53, v32, v50 dst_sel:DWORD dst_unused:UNUSED_PAD src0_sel:DWORD src1_sel:WORD_1
	v_pk_mul_f16 v54, v50, v23 op_sel:[0,1]
	v_pk_mul_f16 v4, v50, v49 op_sel:[0,1]
	;; [unrolled: 1-line block ×7, first 2 shown]
	v_fmac_f16_e32 v52, v32, v50
	v_fma_f16 v32, v33, v50, -v53
	v_pk_fma_f16 v33, v50, v23, v54 op_sel:[0,0,1] op_sel_hi:[1,1,0]
	v_pk_fma_f16 v23, v50, v23, v54 op_sel:[0,0,1] op_sel_hi:[1,0,0] neg_lo:[1,0,0] neg_hi:[1,0,0]
	v_pk_fma_f16 v60, v50, v49, v4 op_sel:[0,0,1] op_sel_hi:[1,1,0]
	v_pk_fma_f16 v4, v50, v49, v4 op_sel:[0,0,1] op_sel_hi:[1,0,0] neg_lo:[1,0,0] neg_hi:[1,0,0]
	;; [unrolled: 2-line block ×7, first 2 shown]
	v_bfi_b32 v23, 0xffff, v33, v23
	v_bfi_b32 v24, 0xffff, v49, v24
	;; [unrolled: 1-line block ×5, first 2 shown]
	v_sub_f16_e32 v4, v31, v32
	v_bfi_b32 v32, 0xffff, v55, v56
	v_bfi_b32 v20, 0xffff, v57, v20
	v_pk_add_f16 v23, v34, v23 neg_lo:[0,1] neg_hi:[0,1]
	v_pk_add_f16 v24, v46, v24 neg_lo:[0,1] neg_hi:[0,1]
	;; [unrolled: 1-line block ×5, first 2 shown]
	v_sub_f16_e32 v19, v30, v52
	v_pk_add_f16 v33, v47, v50 neg_lo:[0,1] neg_hi:[0,1]
	v_pk_add_f16 v20, v45, v20 neg_lo:[0,1] neg_hi:[0,1]
	v_pk_fma_f16 v34, v34, 2.0, v23 op_sel_hi:[1,0,1] neg_lo:[0,0,1] neg_hi:[0,0,1]
	v_pk_fma_f16 v46, v46, 2.0, v24 op_sel_hi:[1,0,1] neg_lo:[0,0,1] neg_hi:[0,0,1]
	;; [unrolled: 1-line block ×7, first 2 shown]
	ds_write2_b32 v29, v34, v23 offset1:8
	ds_write2_b32 v51, v46, v24 offset1:8
	ds_write2_b32 v8, v35, v21 offset1:8
	ds_write2_b32 v16, v36, v22 offset1:8
	ds_write2_b32 v25, v44, v32 offset1:8
	ds_write2_b32 v26, v45, v20 offset1:8
	ds_write2_b32 v27, v47, v33 offset1:8
	s_and_saveexec_b32 s1, s0
	s_cbranch_execz .LBB0_27
; %bb.26:
	v_and_or_b32 v8, 0x6f0, v28, v48
	v_fma_f16 v16, v30, 2.0, -v19
	v_fma_f16 v20, v31, 2.0, -v4
	v_lshl_add_u32 v8, v8, 2, 0
	v_pack_b32_f16 v16, v16, v20
	v_perm_b32 v20, v4, v19, 0x5040100
	ds_write2_b32 v8, v16, v20 offset1:8
.LBB0_27:
	s_or_b32 exec_lo, exec_lo, s1
	v_and_b32_e32 v16, 15, v3
	s_waitcnt lgkmcnt(0)
	s_barrier
	buffer_gl0_inv
	v_add_nc_u32_e32 v22, 0x1000, v37
	v_lshlrev_b32_e32 v8, 3, v16
	v_add_nc_u32_e32 v24, 0xa00, v37
	v_add_nc_u32_e32 v26, 0x1400, v37
	;; [unrolled: 1-line block ×3, first 2 shown]
	ds_read_b32 v30, v37
	global_load_dwordx2 v[20:21], v8, s[12:13] offset:56
	ds_read_b32 v31, v42
	ds_read_b32 v32, v41
	;; [unrolled: 1-line block ×5, first 2 shown]
	ds_read_b32 v35, v37 offset:6272
	ds_read2_b32 v[22:23], v22 offset0:96 offset1:208
	ds_read2_b32 v[24:25], v24 offset0:32 offset1:144
	ds_read2_b32 v[26:27], v26 offset0:64 offset1:176
	ds_read2_b32 v[28:29], v28 offset0:128 offset1:240
	v_lshrrev_b32_e32 v44, 4, v7
	v_lshrrev_b32_e32 v45, 4, v14
	v_lshrrev_b32_e32 v46, 4, v13
	v_lshrrev_b32_e32 v47, 4, v12
	v_lshrrev_b32_e32 v36, 4, v3
	v_mul_lo_u32 v44, v44, 48
	v_mul_lo_u32 v45, v45, 48
	;; [unrolled: 1-line block ×4, first 2 shown]
	v_mul_u32_u24_e32 v36, 48, v36
	v_add_nc_u32_e32 v48, 0x80, v37
	v_add_nc_u32_e32 v49, 64, v37
	;; [unrolled: 1-line block ×3, first 2 shown]
	v_or_b32_e32 v44, v44, v16
	v_or_b32_e32 v36, v36, v16
	s_waitcnt lgkmcnt(7)
	v_lshrrev_b32_e32 v56, 16, v33
	s_waitcnt lgkmcnt(3)
	v_lshrrev_b32_e32 v60, 16, v22
	;; [unrolled: 2-line block ×3, first 2 shown]
	v_lshrrev_b32_e32 v62, 16, v23
	v_lshrrev_b32_e32 v55, 16, v35
	s_waitcnt lgkmcnt(0)
	v_lshrrev_b32_e32 v57, 16, v28
	v_lshrrev_b32_e32 v58, 16, v27
	;; [unrolled: 1-line block ×5, first 2 shown]
	v_or_b32_e32 v45, v45, v16
	v_or_b32_e32 v46, v46, v16
	;; [unrolled: 1-line block ×3, first 2 shown]
	v_lshrrev_b32_e32 v51, 16, v30
	v_lshrrev_b32_e32 v52, 16, v34
	;; [unrolled: 1-line block ×4, first 2 shown]
	v_lshl_add_u32 v47, v16, 2, 0
	v_lshrrev_b32_e32 v16, 16, v8
	v_lshl_add_u32 v36, v36, 2, 0
	v_lshl_add_u32 v44, v44, 2, 0
	;; [unrolled: 1-line block ×3, first 2 shown]
	s_waitcnt vmcnt(0)
	s_barrier
	buffer_gl0_inv
	v_lshl_add_u32 v46, v46, 2, 0
	v_cmp_gt_u32_e64 s1, 16, v3
	v_mul_f16_sdwa v65, v20, v56 dst_sel:DWORD dst_unused:UNUSED_PAD src0_sel:WORD_1 src1_sel:DWORD
	v_mul_f16_sdwa v66, v20, v33 dst_sel:DWORD dst_unused:UNUSED_PAD src0_sel:WORD_1 src1_sel:DWORD
	;; [unrolled: 1-line block ×12, first 2 shown]
	v_mul_f16_sdwa v77, v57, v20 dst_sel:DWORD dst_unused:UNUSED_PAD src0_sel:DWORD src1_sel:WORD_1
	v_mul_f16_sdwa v78, v28, v20 dst_sel:DWORD dst_unused:UNUSED_PAD src0_sel:DWORD src1_sel:WORD_1
	;; [unrolled: 1-line block ×8, first 2 shown]
	v_fmac_f16_e32 v65, v20, v33
	v_fma_f16 v33, v20, v56, -v66
	v_fmac_f16_e32 v67, v21, v22
	v_fma_f16 v22, v21, v60, -v68
	;; [unrolled: 2-line block ×10, first 2 shown]
	v_add_f16_e32 v35, v65, v67
	v_sub_f16_e32 v55, v33, v22
	v_add_f16_e32 v56, v51, v33
	v_add_f16_e32 v33, v33, v22
	;; [unrolled: 1-line block ×3, first 2 shown]
	v_sub_f16_e32 v60, v24, v23
	v_add_f16_e32 v61, v52, v24
	v_add_f16_e32 v24, v24, v23
	;; [unrolled: 1-line block ×3, first 2 shown]
	v_sub_f16_e32 v57, v65, v67
	v_add_f16_e32 v58, v34, v69
	v_sub_f16_e32 v62, v69, v71
	v_add_f16_e32 v63, v31, v73
	v_add_f16_e32 v64, v73, v75
	v_sub_f16_e32 v65, v25, v26
	v_add_f16_e32 v66, v53, v25
	;; [unrolled: 3-line block ×5, first 2 shown]
	v_sub_f16_e32 v78, v20, v21
	v_add_f16_e32 v80, v16, v20
	v_add_f16_e32 v20, v20, v21
	v_fmac_f16_e32 v30, -0.5, v35
	v_fmac_f16_e32 v51, -0.5, v33
	v_fmac_f16_e32 v34, -0.5, v59
	v_fmac_f16_e32 v52, -0.5, v24
	v_add_f16_e32 v76, v8, v81
	v_sub_f16_e32 v81, v81, v83
	v_fmac_f16_e32 v31, -0.5, v64
	v_fmac_f16_e32 v53, -0.5, v25
	;; [unrolled: 1-line block ×6, first 2 shown]
	v_add_f16_e32 v29, v29, v67
	v_add_f16_e32 v22, v56, v22
	v_fmamk_f16 v20, v55, 0xbaee, v30
	v_fmamk_f16 v35, v57, 0x3aee, v51
	v_add_f16_e32 v24, v63, v75
	v_add_f16_e32 v26, v66, v26
	v_fmac_f16_e32 v30, 0x3aee, v55
	v_fmac_f16_e32 v51, 0xbaee, v57
	v_add_f16_e32 v33, v58, v71
	v_add_f16_e32 v23, v61, v23
	;; [unrolled: 1-line block ×4, first 2 shown]
	v_fmamk_f16 v55, v60, 0xbaee, v34
	v_fmamk_f16 v56, v62, 0x3aee, v52
	v_add_f16_e32 v28, v76, v83
	v_add_f16_e32 v21, v80, v21
	v_fmac_f16_e32 v34, 0x3aee, v60
	v_fmac_f16_e32 v52, 0xbaee, v62
	v_fmamk_f16 v57, v65, 0xbaee, v31
	v_fmac_f16_e32 v31, 0x3aee, v65
	v_fmamk_f16 v58, v68, 0x3aee, v53
	;; [unrolled: 2-line block ×6, first 2 shown]
	v_fmac_f16_e32 v16, 0xbaee, v81
	v_pack_b32_f16 v22, v29, v22
	v_pack_b32_f16 v20, v20, v35
	;; [unrolled: 1-line block ×15, first 2 shown]
	ds_write2_b32 v36, v22, v20 offset1:16
	ds_write_b32 v36, v26 offset:128
	ds_write2_b32 v44, v23, v27 offset1:16
	ds_write_b32 v44, v28 offset:128
	;; [unrolled: 2-line block ×5, first 2 shown]
	s_waitcnt lgkmcnt(0)
	s_barrier
	buffer_gl0_inv
	ds_read2_b32 v[25:26], v37 offset1:240
	ds_read2st64_b32 v[35:36], v48 offset0:5 offset1:7
	ds_read2st64_b32 v[33:34], v49 offset0:9 offset1:11
	;; [unrolled: 1-line block ×5, first 2 shown]
	ds_read_b32 v49, v43
	ds_read_b32 v50, v37 offset:6208
                                        ; implicit-def: $vgpr44
                                        ; implicit-def: $vgpr45
                                        ; implicit-def: $vgpr22
                                        ; implicit-def: $vgpr48
                                        ; implicit-def: $vgpr24
                                        ; implicit-def: $vgpr46
                                        ; implicit-def: $vgpr47
	s_and_saveexec_b32 s4, s1
	s_cbranch_execz .LBB0_29
; %bb.28:
	v_add_nc_u32_e32 v4, 0x740, v37
	v_add_nc_u32_e32 v16, 0xec0, v37
	;; [unrolled: 1-line block ×3, first 2 shown]
	ds_read_b32 v8, v42
	ds_read2_b32 v[19:20], v4 offset1:240
	ds_read2_b32 v[21:22], v16 offset1:240
	;; [unrolled: 1-line block ×3, first 2 shown]
	s_waitcnt lgkmcnt(3)
	v_lshrrev_b32_e32 v16, 16, v8
	s_waitcnt lgkmcnt(2)
	v_lshrrev_b32_e32 v4, 16, v19
	v_lshrrev_b32_e32 v44, 16, v20
	s_waitcnt lgkmcnt(1)
	v_lshrrev_b32_e32 v47, 16, v21
	;; [unrolled: 3-line block ×3, first 2 shown]
	v_lshrrev_b32_e32 v48, 16, v24
.LBB0_29:
	s_or_b32 exec_lo, exec_lo, s4
	v_and_b32_e32 v51, 0xff, v3
	v_mov_b32_e32 v55, 6
	v_mov_b32_e32 v73, 0x540
	;; [unrolled: 1-line block ×3, first 2 shown]
	s_waitcnt lgkmcnt(7)
	v_lshrrev_b32_e32 v71, 16, v26
	v_mul_lo_u16 v51, 0xab, v51
	s_waitcnt lgkmcnt(6)
	v_lshrrev_b32_e32 v72, 16, v36
	s_waitcnt lgkmcnt(3)
	v_lshrrev_b32_e32 v77, 16, v28
	;; [unrolled: 2-line block ×4, first 2 shown]
	v_lshrrev_b16 v63, 13, v51
	v_and_b32_e32 v51, 0xff, v7
	v_lshrrev_b32_e32 v74, 16, v34
	v_lshrrev_b32_e32 v76, 16, v30
	;; [unrolled: 1-line block ×3, first 2 shown]
	v_mul_lo_u16 v52, v63, 48
	v_mul_lo_u16 v51, 0xab, v51
	v_mul_u32_u24_sdwa v63, v63, v73 dst_sel:DWORD dst_unused:UNUSED_PAD src0_sel:WORD_0 src1_sel:DWORD
	v_lshrrev_b32_e32 v67, 16, v29
	v_lshrrev_b32_e32 v68, 16, v27
	v_sub_nc_u16 v64, v3, v52
	v_lshrrev_b16 v65, 13, v51
	v_mul_u32_u24_sdwa v51, v64, v55 dst_sel:DWORD dst_unused:UNUSED_PAD src0_sel:BYTE_0 src1_sel:DWORD
	v_mul_lo_u16 v52, v65, 48
	v_mul_u32_u24_sdwa v65, v65, v73 dst_sel:DWORD dst_unused:UNUSED_PAD src0_sel:WORD_0 src1_sel:DWORD
	v_lshlrev_b32_sdwa v64, v75, v64 dst_sel:DWORD dst_unused:UNUSED_PAD src0_sel:DWORD src1_sel:BYTE_0
	v_lshrrev_b32_e32 v73, 16, v32
	v_lshlrev_b32_e32 v56, 2, v51
	v_sub_nc_u16 v66, v7, v52
	v_add3_u32 v63, 0, v63, v64
	global_load_dwordx4 v[51:54], v56, s[12:13] offset:184
	v_mul_u32_u24_sdwa v55, v66, v55 dst_sel:DWORD dst_unused:UNUSED_PAD src0_sel:BYTE_0 src1_sel:DWORD
	v_lshlrev_b32_sdwa v66, v75, v66 dst_sel:DWORD dst_unused:UNUSED_PAD src0_sel:DWORD src1_sel:BYTE_0
	v_lshrrev_b32_e32 v75, 16, v35
	v_lshlrev_b32_e32 v61, 2, v55
	v_add3_u32 v64, 0, v65, v66
	s_clause 0x2
	global_load_dwordx2 v[59:60], v56, s[12:13] offset:200
	global_load_dwordx4 v[55:58], v61, s[12:13] offset:184
	global_load_dwordx2 v[61:62], v61, s[12:13] offset:200
	s_waitcnt vmcnt(0)
	s_barrier
	buffer_gl0_inv
	v_mul_f16_sdwa v65, v51, v71 dst_sel:DWORD dst_unused:UNUSED_PAD src0_sel:WORD_1 src1_sel:DWORD
	v_mul_f16_sdwa v66, v51, v26 dst_sel:DWORD dst_unused:UNUSED_PAD src0_sel:WORD_1 src1_sel:DWORD
	;; [unrolled: 1-line block ×16, first 2 shown]
	v_mul_f16_sdwa v97, v69, v61 dst_sel:DWORD dst_unused:UNUSED_PAD src0_sel:DWORD src1_sel:WORD_1
	v_mul_f16_sdwa v98, v31, v61 dst_sel:DWORD dst_unused:UNUSED_PAD src0_sel:DWORD src1_sel:WORD_1
	;; [unrolled: 1-line block ×8, first 2 shown]
	v_fmac_f16_e32 v65, v51, v26
	v_fma_f16 v26, v51, v71, -v66
	v_fmac_f16_e32 v79, v52, v36
	v_fma_f16 v36, v52, v72, -v80
	;; [unrolled: 2-line block ×12, first 2 shown]
	v_add_f16_e32 v51, v65, v87
	v_add_f16_e32 v52, v26, v32
	v_sub_f16_e32 v26, v26, v32
	v_add_f16_e32 v32, v79, v85
	v_add_f16_e32 v54, v36, v28
	v_sub_f16_e32 v55, v79, v85
	v_sub_f16_e32 v28, v36, v28
	v_add_f16_e32 v36, v81, v83
	v_add_f16_e32 v56, v34, v30
	v_sub_f16_e32 v57, v83, v81
	;; [unrolled: 4-line block ×3, first 2 shown]
	v_add_f16_e32 v50, v91, v97
	v_add_f16_e32 v60, v33, v31
	v_sub_f16_e32 v31, v33, v31
	v_add_f16_e32 v33, v93, v95
	v_add_f16_e32 v62, v29, v27
	v_sub_f16_e32 v27, v27, v29
	;; [unrolled: 3-line block ×3, first 2 shown]
	v_sub_f16_e32 v61, v91, v97
	v_sub_f16_e32 v65, v95, v93
	;; [unrolled: 1-line block ×8, first 2 shown]
	v_add_f16_e32 v69, v57, v55
	v_add_f16_e32 v70, v30, v28
	v_sub_f16_e32 v71, v57, v55
	v_sub_f16_e32 v72, v30, v28
	;; [unrolled: 1-line block ×3, first 2 shown]
	v_add_f16_e32 v73, v50, v34
	v_add_f16_e32 v74, v60, v58
	v_sub_f16_e32 v59, v89, v99
	v_sub_f16_e32 v75, v50, v34
	;; [unrolled: 1-line block ×3, first 2 shown]
	v_add_f16_e32 v78, v27, v31
	v_sub_f16_e32 v80, v27, v31
	v_sub_f16_e32 v31, v31, v35
	v_add_f16_e32 v29, v36, v29
	v_add_f16_e32 v36, v56, v66
	v_sub_f16_e32 v55, v55, v53
	v_sub_f16_e32 v57, v53, v57
	;; [unrolled: 1-line block ×7, first 2 shown]
	v_add_f16_e32 v77, v65, v61
	v_sub_f16_e32 v79, v65, v61
	v_add_f16_e32 v53, v69, v53
	v_add_f16_e32 v26, v70, v26
	v_mul_f16_e32 v51, 0x3a52, v51
	v_mul_f16_e32 v52, 0x3a52, v52
	v_mul_f16_e32 v56, 0x2b26, v32
	v_mul_f16_e32 v66, 0x2b26, v54
	v_mul_f16_e32 v69, 0x3846, v71
	v_mul_f16_e32 v70, 0x3846, v72
	v_mul_f16_e32 v72, 0xbb00, v28
	v_add_f16_e32 v33, v33, v73
	v_add_f16_e32 v62, v62, v74
	v_sub_f16_e32 v27, v35, v27
	v_sub_f16_e32 v61, v61, v59
	v_add_f16_e32 v35, v78, v35
	v_mul_f16_e32 v73, 0x2b26, v50
	v_mul_f16_e32 v78, 0x3846, v80
	;; [unrolled: 1-line block ×3, first 2 shown]
	v_add_f16_e32 v81, v29, v25
	v_add_f16_sdwa v25, v36, v25 dst_sel:DWORD dst_unused:UNUSED_PAD src0_sel:DWORD src1_sel:WORD_1
	v_mul_f16_e32 v71, 0xbb00, v55
	v_sub_f16_e32 v65, v59, v65
	v_add_f16_e32 v59, v77, v59
	v_mul_f16_e32 v34, 0x3a52, v34
	v_mul_f16_e32 v58, 0x3a52, v58
	;; [unrolled: 1-line block ×3, first 2 shown]
	v_fmamk_f16 v32, v32, 0x2b26, v51
	v_fmamk_f16 v54, v54, 0x2b26, v52
	v_fma_f16 v56, v67, 0x39e0, -v56
	v_fma_f16 v66, v68, 0x39e0, -v66
	;; [unrolled: 1-line block ×4, first 2 shown]
	v_fmamk_f16 v67, v57, 0xb574, v69
	v_fmamk_f16 v68, v30, 0xb574, v70
	v_fma_f16 v55, v55, 0xbb00, -v69
	v_fma_f16 v28, v28, 0xbb00, -v70
	;; [unrolled: 1-line block ×3, first 2 shown]
	v_add_f16_e32 v69, v33, v49
	v_add_f16_sdwa v49, v62, v49 dst_sel:DWORD dst_unused:UNUSED_PAD src0_sel:DWORD src1_sel:WORD_1
	v_mul_f16_e32 v74, 0x2b26, v60
	v_mul_f16_e32 v79, 0xbb00, v61
	v_fma_f16 v70, v75, 0x39e0, -v73
	v_fmamk_f16 v73, v27, 0xb574, v78
	v_fma_f16 v31, v31, 0xbb00, -v78
	v_fma_f16 v27, v27, 0x3574, -v80
	v_fmamk_f16 v29, v29, 0xbcab, v81
	v_fmamk_f16 v36, v36, 0xbcab, v25
	v_fma_f16 v57, v57, 0x3574, -v71
	v_fmamk_f16 v50, v50, 0x2b26, v34
	v_fmamk_f16 v60, v60, 0x2b26, v58
	;; [unrolled: 1-line block ×3, first 2 shown]
	v_fmac_f16_e32 v68, 0xb70e, v26
	v_fmac_f16_e32 v28, 0xb70e, v26
	v_fmac_f16_e32 v30, 0xb70e, v26
	v_fmamk_f16 v26, v33, 0xbcab, v69
	v_fmamk_f16 v33, v62, 0xbcab, v49
	v_fma_f16 v71, v76, 0x39e0, -v74
	v_fma_f16 v34, v75, 0xb9e0, -v34
	;; [unrolled: 1-line block ×5, first 2 shown]
	v_fmac_f16_e32 v67, 0xb70e, v53
	v_fmac_f16_e32 v73, 0xb70e, v35
	v_fmac_f16_e32 v31, 0xb70e, v35
	v_fmac_f16_e32 v27, 0xb70e, v35
	v_pack_b32_f16 v35, v69, v49
	v_add_f16_e32 v32, v32, v29
	v_add_f16_e32 v49, v54, v36
	v_fmac_f16_e32 v55, 0xb70e, v53
	v_fmac_f16_e32 v57, 0xb70e, v53
	v_add_f16_e32 v53, v56, v29
	v_add_f16_e32 v54, v66, v36
	;; [unrolled: 1-line block ×4, first 2 shown]
	v_fmac_f16_e32 v72, 0xb70e, v59
	v_add_f16_e32 v50, v50, v26
	v_add_f16_e32 v51, v60, v33
	v_fmac_f16_e32 v61, 0xb70e, v59
	v_fmac_f16_e32 v65, 0xb70e, v59
	v_add_f16_e32 v52, v70, v26
	v_add_f16_e32 v56, v71, v33
	;; [unrolled: 1-line block ×5, first 2 shown]
	v_sub_f16_e32 v58, v49, v67
	v_add_f16_e32 v59, v30, v29
	v_sub_f16_e32 v60, v36, v57
	v_sub_f16_e32 v62, v53, v28
	v_add_f16_e32 v66, v55, v54
	v_add_f16_e32 v28, v28, v53
	v_sub_f16_e32 v53, v54, v55
	v_sub_f16_e32 v29, v29, v30
	v_add_f16_e32 v30, v57, v36
	v_sub_f16_e32 v32, v32, v68
	v_add_f16_e32 v36, v67, v49
	v_add_f16_e32 v49, v73, v50
	v_sub_f16_e32 v54, v51, v72
	v_pack_b32_f16 v25, v81, v25
	v_add_f16_e32 v55, v27, v26
	v_sub_f16_e32 v57, v33, v65
	v_sub_f16_e32 v67, v52, v31
	v_add_f16_e32 v68, v61, v56
	v_add_f16_e32 v31, v31, v52
	v_sub_f16_e32 v52, v56, v61
	v_sub_f16_e32 v26, v26, v27
	v_add_f16_e32 v27, v65, v33
	v_sub_f16_e32 v33, v50, v73
	v_add_f16_e32 v50, v72, v51
	v_pack_b32_f16 v34, v34, v58
	v_pack_b32_f16 v51, v59, v60
	;; [unrolled: 1-line block ×12, first 2 shown]
	ds_write2_b32 v63, v25, v34 offset1:48
	ds_write2_b32 v63, v51, v56 offset0:96 offset1:144
	ds_write2_b32 v63, v28, v29 offset0:192 offset1:240
	ds_write_b32 v63, v30 offset:1152
	ds_write2_b32 v64, v35, v32 offset1:48
	ds_write2_b32 v64, v36, v49 offset0:96 offset1:144
	ds_write2_b32 v64, v31, v26 offset0:192 offset1:240
	ds_write_b32 v64, v27 offset:1152
	s_and_saveexec_b32 s4, s1
	s_cbranch_execz .LBB0_31
; %bb.30:
	v_mov_b32_e32 v25, 0xaaab
	v_mul_u32_u24_sdwa v25, v14, v25 dst_sel:DWORD dst_unused:UNUSED_PAD src0_sel:WORD_0 src1_sel:DWORD
	v_lshrrev_b32_e32 v25, 21, v25
	v_mul_lo_u16 v25, v25, 48
	v_sub_nc_u16 v25, v14, v25
	v_and_b32_e32 v31, 0xffff, v25
	v_mul_u32_u24_e32 v25, 6, v31
	v_lshl_add_u32 v31, v31, 2, 0
	v_lshlrev_b32_e32 v29, 2, v25
	v_add_nc_u32_e32 v32, 0x1400, v31
	v_add_nc_u32_e32 v33, 0x1800, v31
	s_clause 0x1
	global_load_dwordx4 v[25:28], v29, s[12:13] offset:184
	global_load_dwordx2 v[29:30], v29, s[12:13] offset:200
	s_waitcnt vmcnt(1)
	v_mul_f16_sdwa v34, v4, v25 dst_sel:DWORD dst_unused:UNUSED_PAD src0_sel:DWORD src1_sel:WORD_1
	s_waitcnt vmcnt(0)
	v_mul_f16_sdwa v35, v48, v30 dst_sel:DWORD dst_unused:UNUSED_PAD src0_sel:DWORD src1_sel:WORD_1
	v_mul_f16_sdwa v36, v45, v28 dst_sel:DWORD dst_unused:UNUSED_PAD src0_sel:DWORD src1_sel:WORD_1
	;; [unrolled: 1-line block ×11, first 2 shown]
	v_fmac_f16_e32 v34, v19, v25
	v_fmac_f16_e32 v35, v24, v30
	;; [unrolled: 1-line block ×5, first 2 shown]
	v_fma_f16 v19, v48, v30, -v52
	v_fma_f16 v4, v4, v25, -v53
	;; [unrolled: 1-line block ×4, first 2 shown]
	v_fmac_f16_e32 v49, v21, v27
	v_fma_f16 v20, v47, v27, -v54
	v_fma_f16 v21, v45, v28, -v55
	v_sub_f16_e32 v24, v34, v35
	v_add_f16_e32 v27, v4, v19
	v_add_f16_e32 v29, v23, v22
	v_add_f16_e32 v30, v34, v35
	v_add_f16_e32 v35, v50, v51
	v_sub_f16_e32 v25, v36, v49
	v_sub_f16_e32 v26, v50, v51
	v_add_f16_e32 v28, v20, v21
	v_add_f16_e32 v34, v49, v36
	v_sub_f16_e32 v4, v4, v19
	v_sub_f16_e32 v19, v21, v20
	;; [unrolled: 1-line block ×3, first 2 shown]
	v_add_f16_e32 v44, v29, v27
	v_add_f16_e32 v47, v35, v30
	v_sub_f16_e32 v21, v24, v25
	v_sub_f16_e32 v22, v25, v26
	v_add_f16_e32 v23, v25, v26
	v_sub_f16_e32 v25, v27, v28
	v_sub_f16_e32 v36, v28, v29
	;; [unrolled: 1-line block ×6, first 2 shown]
	v_add_f16_e32 v19, v19, v20
	v_sub_f16_e32 v26, v26, v24
	v_sub_f16_e32 v20, v20, v4
	v_add_f16_e32 v28, v28, v44
	v_add_f16_e32 v34, v34, v47
	v_sub_f16_e32 v27, v29, v27
	v_sub_f16_e32 v29, v35, v30
	v_mul_f16_e32 v22, 0x3846, v22
	v_add_f16_e32 v23, v23, v24
	v_mul_f16_e32 v24, 0x3a52, v25
	v_mul_f16_e32 v25, 0x2b26, v36
	;; [unrolled: 1-line block ×4, first 2 shown]
	v_add_f16_e32 v4, v19, v4
	v_mul_f16_e32 v19, 0xbb00, v26
	v_mul_f16_e32 v45, 0xbb00, v20
	v_add_f16_e32 v16, v16, v28
	v_add_f16_e32 v8, v8, v34
	v_mul_f16_e32 v35, 0x2b26, v46
	v_fmamk_f16 v47, v21, 0xb574, v22
	v_fmamk_f16 v36, v36, 0x2b26, v24
	;; [unrolled: 1-line block ×4, first 2 shown]
	v_fma_f16 v19, v21, 0x3574, -v19
	v_fma_f16 v21, v27, 0xb9e0, -v24
	;; [unrolled: 1-line block ×6, first 2 shown]
	v_fmamk_f16 v27, v28, 0xbcab, v16
	v_fmamk_f16 v28, v34, 0xbcab, v8
	v_fma_f16 v22, v26, 0xbb00, -v22
	v_fma_f16 v26, v29, 0x39e0, -v35
	v_fmac_f16_e32 v47, 0xb70e, v23
	v_fmac_f16_e32 v49, 0xb70e, v4
	;; [unrolled: 1-line block ×4, first 2 shown]
	v_pack_b32_f16 v4, v8, v16
	v_add_f16_e32 v8, v36, v27
	v_add_f16_e32 v16, v46, v28
	v_fmac_f16_e32 v19, 0xb70e, v23
	v_fmac_f16_e32 v22, 0xb70e, v23
	v_add_f16_e32 v21, v21, v27
	v_add_f16_e32 v23, v24, v28
	;; [unrolled: 1-line block ×5, first 2 shown]
	v_sub_f16_e32 v27, v16, v49
	v_sub_f16_e32 v8, v8, v47
	v_add_f16_e32 v16, v49, v16
	v_add_f16_e32 v28, v19, v21
	v_sub_f16_e32 v29, v24, v22
	v_add_f16_e32 v22, v22, v24
	v_sub_f16_e32 v19, v21, v19
	;; [unrolled: 2-line block ×4, first 2 shown]
	v_pack_b32_f16 v8, v16, v8
	v_pack_b32_f16 v16, v21, v19
	;; [unrolled: 1-line block ×6, first 2 shown]
	ds_write2_b32 v32, v4, v8 offset0:64 offset1:112
	ds_write2_b32 v32, v16, v19 offset0:160 offset1:208
	ds_write2_b32 v33, v20, v21 offset1:48
	ds_write_b32 v31, v22 offset:6528
.LBB0_31:
	s_or_b32 exec_lo, exec_lo, s4
	v_mov_b32_e32 v16, 0
	s_waitcnt lgkmcnt(0)
	s_barrier
	buffer_gl0_inv
	v_add_nc_u32_e32 v46, 0x1400, v37
	v_lshlrev_b64 v[19:20], 2, v[15:16]
	v_add_nc_u32_e32 v48, 0xc00, v37
	s_add_u32 s4, s12, 0x1a38
	s_addc_u32 s5, s13, 0
	s_mov_b32 s6, exec_lo
	v_add_co_u32 v21, s1, s12, v19
	v_mov_b32_e32 v19, v16
	v_add_co_ci_u32_e64 v22, s1, s13, v20, s1
	v_lshlrev_b64 v[24:25], 2, v[18:19]
	v_mov_b32_e32 v18, v16
	global_load_dwordx4 v[20:23], v[21:22], off offset:1336
	v_lshlrev_b64 v[17:18], 2, v[17:18]
	v_add_co_u32 v24, s1, s12, v24
	v_add_co_ci_u32_e64 v25, s1, s13, v25, s1
	v_add_co_u32 v17, s1, s12, v17
	v_add_co_ci_u32_e64 v18, s1, s13, v18, s1
	s_clause 0x1
	global_load_dwordx4 v[24:27], v[24:25], off offset:1336
	global_load_dwordx4 v[28:31], v[17:18], off offset:1336
	v_add_nc_u32_e32 v17, 0x880, v37
	v_add_nc_u32_e32 v18, 0x1000, v37
	ds_read2st64_b32 v[32:33], v37 offset1:7
	ds_read_b32 v19, v38
	ds_read_b32 v8, v43
	;; [unrolled: 1-line block ×4, first 2 shown]
	ds_read_b32 v50, v37 offset:6272
	ds_read2_b32 v[34:35], v17 offset0:16 offset1:240
	ds_read2_b32 v[44:45], v18 offset0:96 offset1:208
	;; [unrolled: 1-line block ×4, first 2 shown]
	ds_read_u16 v51, v37 offset:1794
	s_waitcnt vmcnt(0) lgkmcnt(0)
	s_barrier
	buffer_gl0_inv
	v_lshrrev_b32_e32 v52, 16, v32
	v_lshrrev_b32_e32 v55, 16, v19
	;; [unrolled: 1-line block ×14, first 2 shown]
	v_mul_f16_sdwa v64, v20, v54 dst_sel:DWORD dst_unused:UNUSED_PAD src0_sel:WORD_1 src1_sel:DWORD
	v_mul_f16_sdwa v65, v20, v36 dst_sel:DWORD dst_unused:UNUSED_PAD src0_sel:WORD_1 src1_sel:DWORD
	;; [unrolled: 1-line block ×8, first 2 shown]
	v_fmac_f16_e32 v64, v20, v36
	v_fma_f16 v20, v20, v54, -v65
	v_fmac_f16_e32 v66, v21, v19
	v_fma_f16 v19, v21, v55, -v67
	;; [unrolled: 2-line block ×4, first 2 shown]
	v_mul_f16_sdwa v23, v51, v24 dst_sel:DWORD dst_unused:UNUSED_PAD src0_sel:DWORD src1_sel:WORD_1
	v_mul_f16_sdwa v36, v24, v33 dst_sel:DWORD dst_unused:UNUSED_PAD src0_sel:WORD_1 src1_sel:DWORD
	v_mul_f16_sdwa v46, v56, v25 dst_sel:DWORD dst_unused:UNUSED_PAD src0_sel:DWORD src1_sel:WORD_1
	v_mul_f16_sdwa v49, v35, v25 dst_sel:DWORD dst_unused:UNUSED_PAD src0_sel:DWORD src1_sel:WORD_1
	;; [unrolled: 1-line block ×14, first 2 shown]
	v_fmac_f16_e32 v23, v24, v33
	v_fma_f16 v24, v51, v24, -v36
	v_fmac_f16_e32 v46, v35, v25
	v_fma_f16 v25, v56, v25, -v49
	;; [unrolled: 2-line block ×4, first 2 shown]
	v_fmac_f16_e32 v65, v34, v28
	v_fmac_f16_e32 v69, v48, v29
	;; [unrolled: 1-line block ×4, first 2 shown]
	v_add_f16_e32 v33, v32, v64
	v_add_f16_e32 v34, v66, v68
	v_sub_f16_e32 v44, v64, v66
	v_sub_f16_e32 v45, v70, v68
	v_add_f16_e32 v47, v64, v70
	v_sub_f16_e32 v48, v66, v64
	v_sub_f16_e32 v49, v68, v70
	v_add_f16_e32 v50, v52, v20
	v_add_f16_e32 v51, v19, v21
	v_sub_f16_e32 v56, v20, v19
	v_sub_f16_e32 v57, v22, v21
	v_add_f16_e32 v58, v20, v22
	v_fma_f16 v28, v59, v28, -v67
	v_sub_f16_e32 v35, v20, v22
	v_sub_f16_e32 v20, v19, v20
	;; [unrolled: 1-line block ×3, first 2 shown]
	v_fma_f16 v29, v60, v29, -v71
	v_fma_f16 v30, v61, v30, -v73
	;; [unrolled: 1-line block ×3, first 2 shown]
	v_sub_f16_e32 v36, v19, v21
	v_sub_f16_e32 v53, v64, v70
	v_add_f16_e32 v33, v33, v66
	v_fma_f16 v34, -0.5, v34, v32
	v_add_f16_e32 v44, v44, v45
	v_fmac_f16_e32 v32, -0.5, v47
	v_add_f16_e32 v45, v48, v49
	v_add_f16_e32 v19, v50, v19
	v_fma_f16 v47, -0.5, v51, v52
	v_add_f16_e32 v48, v56, v57
	v_fmac_f16_e32 v52, -0.5, v58
	v_add_f16_e32 v49, v8, v23
	v_add_f16_e32 v50, v46, v54
	v_sub_f16_e32 v57, v23, v46
	v_sub_f16_e32 v58, v62, v54
	v_add_f16_e32 v63, v18, v24
	v_add_f16_e32 v64, v25, v26
	v_sub_f16_e32 v55, v66, v68
	v_add_f16_e32 v20, v20, v59
	v_add_f16_e32 v59, v23, v62
	;; [unrolled: 1-line block ×3, first 2 shown]
	v_sub_f16_e32 v51, v24, v27
	v_sub_f16_e32 v56, v25, v26
	;; [unrolled: 1-line block ×9, first 2 shown]
	v_add_f16_e32 v76, v4, v65
	v_add_f16_e32 v77, v69, v72
	;; [unrolled: 1-line block ×7, first 2 shown]
	v_fmamk_f16 v68, v35, 0xbb9c, v34
	v_fmamk_f16 v92, v36, 0x3b9c, v32
	v_fmac_f16_e32 v32, 0xbb9c, v36
	v_add_f16_e32 v19, v19, v21
	v_fmamk_f16 v21, v53, 0x3b9c, v47
	v_add_f16_e32 v46, v49, v46
	v_fma_f16 v49, -0.5, v50, v8
	v_add_f16_e32 v50, v57, v58
	v_add_f16_e32 v25, v63, v25
	v_fma_f16 v58, -0.5, v64, v18
	v_fmac_f16_e32 v34, 0x3b9c, v35
	v_fmamk_f16 v93, v55, 0xbb9c, v52
	v_fmac_f16_e32 v8, -0.5, v59
	v_fmac_f16_e32 v18, -0.5, v73
	v_fmac_f16_e32 v52, 0x3b9c, v55
	v_fmac_f16_e32 v47, 0xbb9c, v53
	v_sub_f16_e32 v75, v26, v27
	v_sub_f16_e32 v78, v28, v31
	;; [unrolled: 1-line block ×9, first 2 shown]
	v_add_f16_e32 v57, v60, v61
	v_add_f16_e32 v59, v67, v71
	;; [unrolled: 1-line block ×3, first 2 shown]
	v_fma_f16 v61, -0.5, v77, v4
	v_fmac_f16_e32 v4, -0.5, v82
	v_add_f16_e32 v29, v85, v29
	v_fma_f16 v67, -0.5, v86, v17
	v_fmac_f16_e32 v17, -0.5, v90
	v_add_f16_e32 v33, v33, v70
	v_fmac_f16_e32 v68, 0xb8b4, v36
	v_fmac_f16_e32 v92, 0xb8b4, v35
	;; [unrolled: 1-line block ×3, first 2 shown]
	v_add_f16_e32 v19, v19, v22
	v_fmac_f16_e32 v21, 0x38b4, v55
	v_fmamk_f16 v35, v51, 0xbb9c, v49
	v_add_f16_e32 v25, v25, v26
	v_fmamk_f16 v26, v23, 0x3b9c, v58
	v_fmac_f16_e32 v34, 0x38b4, v36
	v_fmac_f16_e32 v93, 0x38b4, v53
	v_add_f16_e32 v22, v46, v54
	v_fmamk_f16 v36, v56, 0x3b9c, v8
	v_fmamk_f16 v46, v66, 0xbb9c, v18
	v_fmac_f16_e32 v52, 0xb8b4, v53
	v_fmac_f16_e32 v8, 0xbb9c, v56
	;; [unrolled: 1-line block ×6, first 2 shown]
	v_sub_f16_e32 v81, v74, v72
	v_sub_f16_e32 v84, v72, v74
	v_sub_f16_e32 v89, v31, v30
	v_sub_f16_e32 v91, v30, v31
	v_add_f16_e32 v53, v60, v72
	v_fmamk_f16 v54, v78, 0xbb9c, v61
	v_fmac_f16_e32 v61, 0x3b9c, v78
	v_fmamk_f16 v55, v79, 0x3b9c, v4
	v_fmac_f16_e32 v4, 0xbb9c, v79
	v_add_f16_e32 v29, v29, v30
	v_fmamk_f16 v30, v65, 0x3b9c, v67
	v_fmac_f16_e32 v67, 0xbb9c, v65
	v_fmamk_f16 v60, v87, 0xbb9c, v17
	v_fmac_f16_e32 v17, 0x3b9c, v87
	v_fmac_f16_e32 v68, 0x34f2, v44
	;; [unrolled: 1-line block ×5, first 2 shown]
	v_pack_b32_f16 v19, v33, v19
	v_add_f16_e32 v24, v24, v75
	v_fmac_f16_e32 v92, 0x34f2, v45
	v_fmac_f16_e32 v93, 0x34f2, v20
	;; [unrolled: 1-line block ×12, first 2 shown]
	v_add_f16_e32 v20, v22, v62
	v_add_f16_e32 v22, v25, v27
	;; [unrolled: 1-line block ×6, first 2 shown]
	v_fmac_f16_e32 v54, 0xb8b4, v79
	v_fmac_f16_e32 v61, 0x38b4, v79
	;; [unrolled: 1-line block ×10, first 2 shown]
	ds_write_b32 v37, v19
	v_pack_b32_f16 v19, v68, v21
	v_fmac_f16_e32 v36, 0x34f2, v57
	v_fmac_f16_e32 v46, 0x34f2, v24
	v_pack_b32_f16 v21, v92, v93
	v_fmac_f16_e32 v8, 0x34f2, v57
	v_fmac_f16_e32 v18, 0x34f2, v24
	;; [unrolled: 3-line block ×3, first 2 shown]
	v_pack_b32_f16 v27, v34, v47
	v_add_f16_e32 v23, v53, v74
	v_add_f16_e32 v25, v29, v31
	v_pack_b32_f16 v20, v20, v22
	v_fmac_f16_e32 v54, 0x34f2, v63
	v_fmac_f16_e32 v61, 0x34f2, v63
	;; [unrolled: 1-line block ×8, first 2 shown]
	ds_write_b32 v37, v19 offset:1344
	ds_write_b32 v37, v21 offset:2688
	;; [unrolled: 1-line block ×4, first 2 shown]
	ds_write_b32 v43, v20
	v_pack_b32_f16 v19, v35, v26
	v_pack_b32_f16 v20, v36, v46
	;; [unrolled: 1-line block ×9, first 2 shown]
	ds_write_b32 v43, v19 offset:1344
	ds_write_b32 v43, v20 offset:2688
	ds_write_b32 v43, v8 offset:4032
	ds_write_b32 v43, v18 offset:5376
	ds_write_b32 v42, v22
	ds_write_b32 v42, v21 offset:1344
	ds_write_b32 v42, v23 offset:2688
	;; [unrolled: 1-line block ×4, first 2 shown]
	s_waitcnt lgkmcnt(0)
	s_barrier
	buffer_gl0_inv
	ds_read_b32 v8, v37
	v_sub_nc_u32_e32 v17, 0, v15
                                        ; implicit-def: $vgpr19
                                        ; implicit-def: $vgpr18
                                        ; implicit-def: $vgpr4
	v_cmpx_ne_u32_e32 0, v3
	s_xor_b32 s6, exec_lo, s6
	s_cbranch_execz .LBB0_33
; %bb.32:
	v_mov_b32_e32 v4, v16
	v_lshlrev_b64 v[15:16], 2, v[3:4]
	ds_read_b32 v4, v17 offset:6720
	v_add_co_u32 v15, s1, s4, v15
	v_add_co_ci_u32_e64 v16, s1, s5, v16, s1
	global_load_dword v15, v[15:16], off
	s_waitcnt lgkmcnt(0)
	v_sub_f16_e32 v16, v8, v4
	v_add_f16_sdwa v18, v4, v8 dst_sel:DWORD dst_unused:UNUSED_PAD src0_sel:WORD_1 src1_sel:WORD_1
	v_sub_f16_sdwa v19, v8, v4 dst_sel:DWORD dst_unused:UNUSED_PAD src0_sel:WORD_1 src1_sel:WORD_1
	v_add_f16_e32 v4, v4, v8
	v_mul_f16_e32 v16, 0.5, v16
	v_mul_f16_e32 v8, 0.5, v18
	;; [unrolled: 1-line block ×3, first 2 shown]
	s_waitcnt vmcnt(0)
	v_lshrrev_b32_e32 v20, 16, v15
	v_mul_f16_e32 v19, v20, v16
	v_fma_f16 v21, v8, v20, v18
	v_fma_f16 v20, v8, v20, -v18
	v_fma_f16 v22, 0.5, v4, v19
	v_fma_f16 v19, v4, 0.5, -v19
	v_fma_f16 v4, -v15, v16, v21
	v_fmac_f16_e32 v22, v15, v8
	v_fma_f16 v18, -v15, v8, v19
	v_fma_f16 v19, -v15, v16, v20
                                        ; implicit-def: $vgpr8
	ds_write_b16 v37, v22
.LBB0_33:
	s_andn2_saveexec_b32 s1, s6
	s_cbranch_execz .LBB0_35
; %bb.34:
	v_mov_b32_e32 v4, 0
	s_waitcnt lgkmcnt(0)
	v_add_f16_sdwa v16, v8, v8 dst_sel:DWORD dst_unused:UNUSED_PAD src0_sel:WORD_1 src1_sel:DWORD
	v_sub_f16_sdwa v18, v8, v8 dst_sel:DWORD dst_unused:UNUSED_PAD src0_sel:DWORD src1_sel:WORD_1
	v_mov_b32_e32 v19, 0
	ds_read_u16 v15, v4 offset:3362
	s_waitcnt lgkmcnt(0)
	v_xor_b32_e32 v8, 0x8000, v15
	ds_write_b16 v37, v16
	ds_write_b16 v4, v8 offset:3362
.LBB0_35:
	s_or_b32 exec_lo, exec_lo, s1
	s_waitcnt lgkmcnt(0)
	v_mov_b32_e32 v8, 0
	v_lshlrev_b64 v[15:16], 2, v[7:8]
	v_add_co_u32 v15, s1, s4, v15
	v_add_co_ci_u32_e64 v16, s1, s5, v16, s1
	global_load_dword v7, v[15:16], off
	v_mov_b32_e32 v15, v8
	v_perm_b32 v16, v19, v18, 0x5040100
	v_lshlrev_b64 v[14:15], 2, v[14:15]
	v_add_co_u32 v14, s1, s4, v14
	v_add_co_ci_u32_e64 v15, s1, s5, v15, s1
	global_load_dword v15, v[14:15], off
	v_mov_b32_e32 v14, v8
	v_lshlrev_b64 v[13:14], 2, v[13:14]
	v_add_co_u32 v13, s1, s4, v13
	v_add_co_ci_u32_e64 v14, s1, s5, v14, s1
	global_load_dword v14, v[13:14], off
	v_mov_b32_e32 v13, v8
	;; [unrolled: 5-line block ×4, first 2 shown]
	ds_write_b16 v37, v4 offset:2
	ds_write_b32 v17, v16 offset:6720
	ds_read_b32 v4, v43
	ds_read_b32 v16, v17 offset:6272
	v_lshlrev_b64 v[10:11], 2, v[10:11]
	v_add_co_u32 v10, s1, s4, v10
	v_add_co_ci_u32_e64 v11, s1, s5, v11, s1
	global_load_dword v10, v[10:11], off
	s_waitcnt lgkmcnt(0)
	v_pk_add_f16 v11, v4, v16 neg_lo:[0,1] neg_hi:[0,1]
	v_pk_add_f16 v4, v4, v16
	v_bfi_b32 v16, 0xffff, v11, v4
	v_bfi_b32 v4, 0xffff, v4, v11
	v_pk_mul_f16 v11, v16, 0.5 op_sel_hi:[1,0]
	v_pk_mul_f16 v4, v4, 0.5 op_sel_hi:[1,0]
	s_waitcnt vmcnt(5)
	v_pk_fma_f16 v16, v7, v11, v4 op_sel:[1,0,0]
	v_pk_mul_f16 v18, v7, v11 op_sel_hi:[0,1]
	v_pk_fma_f16 v19, v7, v11, v4 op_sel:[1,0,0] neg_lo:[1,0,0] neg_hi:[1,0,0]
	v_pk_fma_f16 v4, v7, v11, v4 op_sel:[1,0,0] neg_lo:[0,0,1] neg_hi:[0,0,1]
	v_pk_add_f16 v7, v16, v18 op_sel:[0,1] op_sel_hi:[1,0]
	v_pk_add_f16 v11, v16, v18 op_sel:[0,1] op_sel_hi:[1,0] neg_lo:[0,1] neg_hi:[0,1]
	v_pk_add_f16 v16, v19, v18 op_sel:[0,1] op_sel_hi:[1,0] neg_lo:[0,1] neg_hi:[0,1]
	v_pk_add_f16 v4, v4, v18 op_sel:[0,1] op_sel_hi:[1,0] neg_lo:[0,1] neg_hi:[0,1]
	v_bfi_b32 v7, 0xffff, v7, v11
	v_bfi_b32 v4, 0xffff, v16, v4
	ds_write_b32 v43, v7
	ds_write_b32 v17, v4 offset:6272
	ds_read_b32 v4, v42
	ds_read_b32 v7, v17 offset:5824
	s_waitcnt lgkmcnt(0)
	v_pk_add_f16 v11, v4, v7 neg_lo:[0,1] neg_hi:[0,1]
	v_pk_add_f16 v4, v4, v7
	v_bfi_b32 v7, 0xffff, v11, v4
	v_bfi_b32 v4, 0xffff, v4, v11
	v_pk_mul_f16 v7, v7, 0.5 op_sel_hi:[1,0]
	v_pk_mul_f16 v4, v4, 0.5 op_sel_hi:[1,0]
	s_waitcnt vmcnt(4)
	v_pk_mul_f16 v16, v15, v7 op_sel_hi:[0,1]
	v_pk_fma_f16 v11, v15, v7, v4 op_sel:[1,0,0]
	v_pk_fma_f16 v18, v15, v7, v4 op_sel:[1,0,0] neg_lo:[1,0,0] neg_hi:[1,0,0]
	v_pk_fma_f16 v4, v15, v7, v4 op_sel:[1,0,0] neg_lo:[0,0,1] neg_hi:[0,0,1]
	v_pk_add_f16 v7, v11, v16 op_sel:[0,1] op_sel_hi:[1,0]
	v_pk_add_f16 v11, v11, v16 op_sel:[0,1] op_sel_hi:[1,0] neg_lo:[0,1] neg_hi:[0,1]
	v_pk_add_f16 v15, v18, v16 op_sel:[0,1] op_sel_hi:[1,0] neg_lo:[0,1] neg_hi:[0,1]
	v_pk_add_f16 v4, v4, v16 op_sel:[0,1] op_sel_hi:[1,0] neg_lo:[0,1] neg_hi:[0,1]
	v_bfi_b32 v7, 0xffff, v7, v11
	v_bfi_b32 v4, 0xffff, v15, v4
	ds_write_b32 v42, v7
	ds_write_b32 v17, v4 offset:5824
	ds_read_b32 v4, v41
	ds_read_b32 v7, v17 offset:5376
	s_waitcnt lgkmcnt(0)
	v_pk_add_f16 v11, v4, v7 neg_lo:[0,1] neg_hi:[0,1]
	v_pk_add_f16 v4, v4, v7
	v_bfi_b32 v7, 0xffff, v11, v4
	v_bfi_b32 v4, 0xffff, v4, v11
	v_pk_mul_f16 v7, v7, 0.5 op_sel_hi:[1,0]
	v_pk_mul_f16 v4, v4, 0.5 op_sel_hi:[1,0]
	s_waitcnt vmcnt(3)
	v_pk_mul_f16 v15, v14, v7 op_sel_hi:[0,1]
	v_pk_fma_f16 v11, v14, v7, v4 op_sel:[1,0,0]
	;; [unrolled: 22-line block ×5, first 2 shown]
	v_pk_fma_f16 v13, v10, v7, v4 op_sel:[1,0,0] neg_lo:[1,0,0] neg_hi:[1,0,0]
	v_pk_fma_f16 v4, v10, v7, v4 op_sel:[1,0,0] neg_lo:[0,0,1] neg_hi:[0,0,1]
	v_pk_add_f16 v7, v11, v12 op_sel:[0,1] op_sel_hi:[1,0]
	v_pk_add_f16 v10, v11, v12 op_sel:[0,1] op_sel_hi:[1,0] neg_lo:[0,1] neg_hi:[0,1]
	v_pk_add_f16 v11, v13, v12 op_sel:[0,1] op_sel_hi:[1,0] neg_lo:[0,1] neg_hi:[0,1]
	;; [unrolled: 1-line block ×3, first 2 shown]
	v_bfi_b32 v7, 0xffff, v7, v10
	v_bfi_b32 v4, 0xffff, v11, v4
	ds_write_b32 v38, v7
	ds_write_b32 v17, v4 offset:4032
	s_and_saveexec_b32 s1, s0
	s_cbranch_execz .LBB0_37
; %bb.36:
	v_mov_b32_e32 v10, v8
	v_lshlrev_b64 v[7:8], 2, v[9:10]
	v_add_co_u32 v7, s0, s4, v7
	v_add_co_ci_u32_e64 v8, s0, s5, v8, s0
	global_load_dword v4, v[7:8], off
	ds_read_b32 v7, v0
	ds_read_b32 v8, v17 offset:3584
	s_waitcnt lgkmcnt(0)
	v_pk_add_f16 v9, v7, v8 neg_lo:[0,1] neg_hi:[0,1]
	v_pk_add_f16 v7, v7, v8
	v_bfi_b32 v8, 0xffff, v9, v7
	v_bfi_b32 v7, 0xffff, v7, v9
	v_pk_mul_f16 v8, v8, 0.5 op_sel_hi:[1,0]
	v_pk_mul_f16 v7, v7, 0.5 op_sel_hi:[1,0]
	s_waitcnt vmcnt(0)
	v_pk_fma_f16 v9, v4, v8, v7 op_sel:[1,0,0]
	v_pk_mul_f16 v10, v4, v8 op_sel_hi:[0,1]
	v_pk_fma_f16 v11, v4, v8, v7 op_sel:[1,0,0] neg_lo:[1,0,0] neg_hi:[1,0,0]
	v_pk_fma_f16 v4, v4, v8, v7 op_sel:[1,0,0] neg_lo:[0,0,1] neg_hi:[0,0,1]
	v_pk_add_f16 v7, v9, v10 op_sel:[0,1] op_sel_hi:[1,0]
	v_pk_add_f16 v8, v9, v10 op_sel:[0,1] op_sel_hi:[1,0] neg_lo:[0,1] neg_hi:[0,1]
	v_pk_add_f16 v9, v11, v10 op_sel:[0,1] op_sel_hi:[1,0] neg_lo:[0,1] neg_hi:[0,1]
	;; [unrolled: 1-line block ×3, first 2 shown]
	v_bfi_b32 v7, 0xffff, v7, v8
	v_bfi_b32 v4, 0xffff, v9, v4
	ds_write_b32 v0, v7
	ds_write_b32 v17, v4 offset:3584
.LBB0_37:
	s_or_b32 exec_lo, exec_lo, s1
	s_waitcnt lgkmcnt(0)
	s_barrier
	buffer_gl0_inv
	s_and_saveexec_b32 s0, vcc_lo
	s_cbranch_execz .LBB0_40
; %bb.38:
	v_mul_lo_u32 v0, s3, v5
	v_mul_lo_u32 v7, s2, v6
	v_mad_u64_u32 v[5:6], null, s2, v5, 0
	v_lshl_add_u32 v21, v3, 2, 0
	v_mov_b32_e32 v4, 0
	v_add_nc_u32_e32 v9, 0xe0, v3
	v_add_nc_u32_e32 v19, 0x310, v3
	ds_read2_b32 v[11:12], v21 offset1:112
	v_add3_u32 v6, v6, v7, v0
	v_lshlrev_b64 v[0:1], 2, v[1:2]
	v_add_nc_u32_e32 v2, 0x200, v21
	v_add_nc_u32_e32 v7, 0x70, v3
	v_mov_b32_e32 v8, v4
	v_lshlrev_b64 v[5:6], 2, v[5:6]
	v_lshlrev_b64 v[13:14], 2, v[3:4]
	v_mov_b32_e32 v10, v4
	v_mov_b32_e32 v20, v4
	v_lshlrev_b64 v[7:8], 2, v[7:8]
	v_add_co_u32 v15, vcc_lo, s10, v5
	v_add_co_ci_u32_e32 v16, vcc_lo, s11, v6, vcc_lo
	ds_read2_b32 v[5:6], v2 offset0:96 offset1:208
	v_add_co_u32 v0, vcc_lo, v15, v0
	v_add_co_ci_u32_e32 v1, vcc_lo, v16, v1, vcc_lo
	v_lshlrev_b64 v[9:10], 2, v[9:10]
	v_add_co_u32 v13, vcc_lo, v0, v13
	v_add_co_ci_u32_e32 v14, vcc_lo, v1, v14, vcc_lo
	v_add_co_u32 v7, vcc_lo, v0, v7
	v_add_co_ci_u32_e32 v8, vcc_lo, v1, v8, vcc_lo
	;; [unrolled: 2-line block ×3, first 2 shown]
	v_add_nc_u32_e32 v15, 0x150, v3
	v_mov_b32_e32 v16, v4
	v_add_nc_u32_e32 v2, 0x600, v21
	s_waitcnt lgkmcnt(1)
	global_store_dword v[13:14], v11, off
	global_store_dword v[7:8], v12, off
	s_waitcnt lgkmcnt(0)
	global_store_dword v[9:10], v5, off
	v_add_nc_u32_e32 v5, 0xa00, v21
	v_add_nc_u32_e32 v9, 0x1c0, v3
	v_mov_b32_e32 v10, v4
	v_lshlrev_b64 v[7:8], 2, v[15:16]
	ds_read2_b32 v[13:14], v2 offset0:64 offset1:176
	v_add_nc_u32_e32 v11, 0x230, v3
	v_mov_b32_e32 v12, v4
	ds_read2_b32 v[17:18], v5 offset0:32 offset1:144
	v_lshlrev_b64 v[9:10], 2, v[9:10]
	v_add_nc_u32_e32 v15, 0x2a0, v3
	v_add_co_u32 v7, vcc_lo, v0, v7
	v_lshlrev_b64 v[11:12], 2, v[11:12]
	v_add_co_ci_u32_e32 v8, vcc_lo, v1, v8, vcc_lo
	v_add_co_u32 v9, vcc_lo, v0, v9
	v_lshlrev_b64 v[15:16], 2, v[15:16]
	v_add_co_ci_u32_e32 v10, vcc_lo, v1, v10, vcc_lo
	v_add_co_u32 v11, vcc_lo, v0, v11
	v_add_co_ci_u32_e32 v12, vcc_lo, v1, v12, vcc_lo
	v_add_co_u32 v15, vcc_lo, v0, v15
	v_add_co_ci_u32_e32 v16, vcc_lo, v1, v16, vcc_lo
	v_add_nc_u32_e32 v2, 0xc00, v21
	global_store_dword v[7:8], v6, off
	s_waitcnt lgkmcnt(1)
	global_store_dword v[9:10], v13, off
	global_store_dword v[11:12], v14, off
	s_waitcnt lgkmcnt(0)
	global_store_dword v[15:16], v17, off
	v_add_nc_u32_e32 v14, 0x1000, v21
	v_add_nc_u32_e32 v7, 0x380, v3
	v_mov_b32_e32 v8, v4
	v_lshlrev_b64 v[5:6], 2, v[19:20]
	ds_read2_b32 v[11:12], v2 offset0:128 offset1:240
	v_add_nc_u32_e32 v9, 0x3f0, v3
	v_mov_b32_e32 v10, v4
	ds_read2_b32 v[15:16], v14 offset0:96 offset1:208
	v_lshlrev_b64 v[7:8], 2, v[7:8]
	v_add_nc_u32_e32 v13, 0x460, v3
	v_mov_b32_e32 v14, v4
	v_add_co_u32 v5, vcc_lo, v0, v5
	v_lshlrev_b64 v[9:10], 2, v[9:10]
	v_add_co_ci_u32_e32 v6, vcc_lo, v1, v6, vcc_lo
	v_add_co_u32 v7, vcc_lo, v0, v7
	v_lshlrev_b64 v[13:14], 2, v[13:14]
	v_add_co_ci_u32_e32 v8, vcc_lo, v1, v8, vcc_lo
	v_add_co_u32 v9, vcc_lo, v0, v9
	v_add_co_ci_u32_e32 v10, vcc_lo, v1, v10, vcc_lo
	v_add_co_u32 v13, vcc_lo, v0, v13
	v_add_nc_u32_e32 v19, 0x4d0, v3
	v_add_co_ci_u32_e32 v14, vcc_lo, v1, v14, vcc_lo
	global_store_dword v[5:6], v18, off
	s_waitcnt lgkmcnt(1)
	global_store_dword v[7:8], v11, off
	global_store_dword v[9:10], v12, off
	s_waitcnt lgkmcnt(0)
	global_store_dword v[13:14], v15, off
	v_add_nc_u32_e32 v7, 0x540, v3
	v_mov_b32_e32 v8, v4
	v_add_nc_u32_e32 v2, 0x1400, v21
	v_lshlrev_b64 v[5:6], 2, v[19:20]
	v_add_nc_u32_e32 v9, 0x5b0, v3
	v_mov_b32_e32 v10, v4
	v_lshlrev_b64 v[7:8], 2, v[7:8]
	ds_read2_b32 v[11:12], v2 offset0:64 offset1:176
	v_add_nc_u32_e32 v13, 0x620, v3
	v_mov_b32_e32 v14, v4
	v_add_co_u32 v5, vcc_lo, v0, v5
	v_lshlrev_b64 v[9:10], 2, v[9:10]
	ds_read_b32 v2, v21 offset:6272
	v_add_co_ci_u32_e32 v6, vcc_lo, v1, v6, vcc_lo
	v_add_co_u32 v7, vcc_lo, v0, v7
	v_lshlrev_b64 v[13:14], 2, v[13:14]
	v_add_co_ci_u32_e32 v8, vcc_lo, v1, v8, vcc_lo
	v_add_co_u32 v9, vcc_lo, v0, v9
	v_add_co_ci_u32_e32 v10, vcc_lo, v1, v10, vcc_lo
	v_add_co_u32 v13, vcc_lo, v0, v13
	v_add_co_ci_u32_e32 v14, vcc_lo, v1, v14, vcc_lo
	v_cmp_eq_u32_e32 vcc_lo, 0x6f, v3
	global_store_dword v[5:6], v16, off
	s_waitcnt lgkmcnt(1)
	global_store_dword v[7:8], v11, off
	global_store_dword v[9:10], v12, off
	s_waitcnt lgkmcnt(0)
	global_store_dword v[13:14], v2, off
	s_and_b32 exec_lo, exec_lo, vcc_lo
	s_cbranch_execz .LBB0_40
; %bb.39:
	ds_read_b32 v2, v4 offset:6720
	v_add_co_u32 v0, vcc_lo, 0x1800, v0
	v_add_co_ci_u32_e32 v1, vcc_lo, 0, v1, vcc_lo
	s_waitcnt lgkmcnt(0)
	global_store_dword v[0:1], v2, off offset:576
.LBB0_40:
	s_endpgm
	.section	.rodata,"a",@progbits
	.p2align	6, 0x0
	.amdhsa_kernel fft_rtc_back_len1680_factors_2_2_2_2_3_7_5_wgs_112_tpt_112_halfLds_half_op_CI_CI_unitstride_sbrr_R2C_dirReg
		.amdhsa_group_segment_fixed_size 0
		.amdhsa_private_segment_fixed_size 0
		.amdhsa_kernarg_size 104
		.amdhsa_user_sgpr_count 6
		.amdhsa_user_sgpr_private_segment_buffer 1
		.amdhsa_user_sgpr_dispatch_ptr 0
		.amdhsa_user_sgpr_queue_ptr 0
		.amdhsa_user_sgpr_kernarg_segment_ptr 1
		.amdhsa_user_sgpr_dispatch_id 0
		.amdhsa_user_sgpr_flat_scratch_init 0
		.amdhsa_user_sgpr_private_segment_size 0
		.amdhsa_wavefront_size32 1
		.amdhsa_uses_dynamic_stack 0
		.amdhsa_system_sgpr_private_segment_wavefront_offset 0
		.amdhsa_system_sgpr_workgroup_id_x 1
		.amdhsa_system_sgpr_workgroup_id_y 0
		.amdhsa_system_sgpr_workgroup_id_z 0
		.amdhsa_system_sgpr_workgroup_info 0
		.amdhsa_system_vgpr_workitem_id 0
		.amdhsa_next_free_vgpr 101
		.amdhsa_next_free_sgpr 27
		.amdhsa_reserve_vcc 1
		.amdhsa_reserve_flat_scratch 0
		.amdhsa_float_round_mode_32 0
		.amdhsa_float_round_mode_16_64 0
		.amdhsa_float_denorm_mode_32 3
		.amdhsa_float_denorm_mode_16_64 3
		.amdhsa_dx10_clamp 1
		.amdhsa_ieee_mode 1
		.amdhsa_fp16_overflow 0
		.amdhsa_workgroup_processor_mode 1
		.amdhsa_memory_ordered 1
		.amdhsa_forward_progress 0
		.amdhsa_shared_vgpr_count 0
		.amdhsa_exception_fp_ieee_invalid_op 0
		.amdhsa_exception_fp_denorm_src 0
		.amdhsa_exception_fp_ieee_div_zero 0
		.amdhsa_exception_fp_ieee_overflow 0
		.amdhsa_exception_fp_ieee_underflow 0
		.amdhsa_exception_fp_ieee_inexact 0
		.amdhsa_exception_int_div_zero 0
	.end_amdhsa_kernel
	.text
.Lfunc_end0:
	.size	fft_rtc_back_len1680_factors_2_2_2_2_3_7_5_wgs_112_tpt_112_halfLds_half_op_CI_CI_unitstride_sbrr_R2C_dirReg, .Lfunc_end0-fft_rtc_back_len1680_factors_2_2_2_2_3_7_5_wgs_112_tpt_112_halfLds_half_op_CI_CI_unitstride_sbrr_R2C_dirReg
                                        ; -- End function
	.section	.AMDGPU.csdata,"",@progbits
; Kernel info:
; codeLenInByte = 13620
; NumSgprs: 29
; NumVgprs: 101
; ScratchSize: 0
; MemoryBound: 0
; FloatMode: 240
; IeeeMode: 1
; LDSByteSize: 0 bytes/workgroup (compile time only)
; SGPRBlocks: 3
; VGPRBlocks: 12
; NumSGPRsForWavesPerEU: 29
; NumVGPRsForWavesPerEU: 101
; Occupancy: 9
; WaveLimiterHint : 1
; COMPUTE_PGM_RSRC2:SCRATCH_EN: 0
; COMPUTE_PGM_RSRC2:USER_SGPR: 6
; COMPUTE_PGM_RSRC2:TRAP_HANDLER: 0
; COMPUTE_PGM_RSRC2:TGID_X_EN: 1
; COMPUTE_PGM_RSRC2:TGID_Y_EN: 0
; COMPUTE_PGM_RSRC2:TGID_Z_EN: 0
; COMPUTE_PGM_RSRC2:TIDIG_COMP_CNT: 0
	.text
	.p2alignl 6, 3214868480
	.fill 48, 4, 3214868480
	.type	__hip_cuid_ebfb1ceae02e0a28,@object ; @__hip_cuid_ebfb1ceae02e0a28
	.section	.bss,"aw",@nobits
	.globl	__hip_cuid_ebfb1ceae02e0a28
__hip_cuid_ebfb1ceae02e0a28:
	.byte	0                               ; 0x0
	.size	__hip_cuid_ebfb1ceae02e0a28, 1

	.ident	"AMD clang version 19.0.0git (https://github.com/RadeonOpenCompute/llvm-project roc-6.4.0 25133 c7fe45cf4b819c5991fe208aaa96edf142730f1d)"
	.section	".note.GNU-stack","",@progbits
	.addrsig
	.addrsig_sym __hip_cuid_ebfb1ceae02e0a28
	.amdgpu_metadata
---
amdhsa.kernels:
  - .args:
      - .actual_access:  read_only
        .address_space:  global
        .offset:         0
        .size:           8
        .value_kind:     global_buffer
      - .offset:         8
        .size:           8
        .value_kind:     by_value
      - .actual_access:  read_only
        .address_space:  global
        .offset:         16
        .size:           8
        .value_kind:     global_buffer
      - .actual_access:  read_only
        .address_space:  global
        .offset:         24
        .size:           8
        .value_kind:     global_buffer
      - .actual_access:  read_only
        .address_space:  global
        .offset:         32
        .size:           8
        .value_kind:     global_buffer
      - .offset:         40
        .size:           8
        .value_kind:     by_value
      - .actual_access:  read_only
        .address_space:  global
        .offset:         48
        .size:           8
        .value_kind:     global_buffer
      - .actual_access:  read_only
        .address_space:  global
        .offset:         56
        .size:           8
        .value_kind:     global_buffer
      - .offset:         64
        .size:           4
        .value_kind:     by_value
      - .actual_access:  read_only
        .address_space:  global
        .offset:         72
        .size:           8
        .value_kind:     global_buffer
      - .actual_access:  read_only
        .address_space:  global
        .offset:         80
        .size:           8
        .value_kind:     global_buffer
      - .actual_access:  read_only
        .address_space:  global
        .offset:         88
        .size:           8
        .value_kind:     global_buffer
      - .actual_access:  write_only
        .address_space:  global
        .offset:         96
        .size:           8
        .value_kind:     global_buffer
    .group_segment_fixed_size: 0
    .kernarg_segment_align: 8
    .kernarg_segment_size: 104
    .language:       OpenCL C
    .language_version:
      - 2
      - 0
    .max_flat_workgroup_size: 112
    .name:           fft_rtc_back_len1680_factors_2_2_2_2_3_7_5_wgs_112_tpt_112_halfLds_half_op_CI_CI_unitstride_sbrr_R2C_dirReg
    .private_segment_fixed_size: 0
    .sgpr_count:     29
    .sgpr_spill_count: 0
    .symbol:         fft_rtc_back_len1680_factors_2_2_2_2_3_7_5_wgs_112_tpt_112_halfLds_half_op_CI_CI_unitstride_sbrr_R2C_dirReg.kd
    .uniform_work_group_size: 1
    .uses_dynamic_stack: false
    .vgpr_count:     101
    .vgpr_spill_count: 0
    .wavefront_size: 32
    .workgroup_processor_mode: 1
amdhsa.target:   amdgcn-amd-amdhsa--gfx1030
amdhsa.version:
  - 1
  - 2
...

	.end_amdgpu_metadata
